;; amdgpu-corpus repo=ROCm/rocFFT kind=compiled arch=gfx950 opt=O3
	.text
	.amdgcn_target "amdgcn-amd-amdhsa--gfx950"
	.amdhsa_code_object_version 6
	.protected	bluestein_single_back_len294_dim1_half_op_CI_CI ; -- Begin function bluestein_single_back_len294_dim1_half_op_CI_CI
	.globl	bluestein_single_back_len294_dim1_half_op_CI_CI
	.p2align	8
	.type	bluestein_single_back_len294_dim1_half_op_CI_CI,@function
bluestein_single_back_len294_dim1_half_op_CI_CI: ; @bluestein_single_back_len294_dim1_half_op_CI_CI
; %bb.0:
	s_load_dwordx4 s[12:15], s[0:1], 0x28
	v_mul_u32_u24_e32 v1, 0x619, v0
	v_lshrrev_b32_e32 v2, 16, v1
	v_mad_u64_u32 v[12:13], s[2:3], s2, 3, v[2:3]
	v_mov_b32_e32 v11, 0
	v_mov_b32_e32 v13, v11
	s_waitcnt lgkmcnt(0)
	v_cmp_gt_u64_e32 vcc, s[12:13], v[12:13]
	s_and_saveexec_b64 s[2:3], vcc
	s_cbranch_execz .LBB0_15
; %bb.1:
	s_load_dwordx4 s[4:7], s[0:1], 0x18
	s_load_dwordx2 s[12:13], s[0:1], 0x0
	v_mul_lo_u16_e32 v1, 42, v2
	v_sub_u16_e32 v10, v0, v1
	v_mov_b32_e32 v4, s14
	s_waitcnt lgkmcnt(0)
	s_load_dwordx4 s[8:11], s[4:5], 0x0
	v_mov_b32_e32 v5, s15
	s_mov_b32 s4, 0xaaaaaaab
	v_mul_hi_u32 v8, v12, s4
	v_lshrrev_b32_e32 v8, 1, v8
	s_waitcnt lgkmcnt(0)
	v_mad_u64_u32 v[0:1], s[2:3], s10, v12, 0
	v_mov_b32_e32 v2, v1
	v_mad_u64_u32 v[2:3], s[2:3], s11, v12, v[2:3]
	v_mov_b32_e32 v1, v2
	;; [unrolled: 2-line block ×3, first 2 shown]
	v_mad_u64_u32 v[6:7], s[2:3], s9, v10, v[6:7]
	s_mul_i32 s2, s9, 49
	s_mul_hi_u32 s3, s8, 49
	v_mov_b32_e32 v3, v6
	v_lshl_add_u64 v[0:1], v[0:1], 2, v[4:5]
	s_add_i32 s3, s3, s2
	s_mul_i32 s2, s8, 49
	v_lshl_add_u64 v[0:1], v[2:3], 2, v[0:1]
	v_lshlrev_b32_e32 v2, 2, v10
	s_lshl_b64 s[10:11], s[2:3], 2
	global_load_dword v37, v2, s[12:13]
	global_load_dword v4, v[0:1], off
	v_lshl_add_u64 v[0:1], v[0:1], 0, s[10:11]
	global_load_dword v5, v[0:1], off
	global_load_dword v36, v2, s[12:13] offset:196
	v_lshl_add_u64 v[0:1], v[0:1], 0, s[10:11]
	global_load_dword v6, v[0:1], off
	global_load_dword v35, v2, s[12:13] offset:392
	;; [unrolled: 3-line block ×5, first 2 shown]
	v_lshl_add_u32 v8, v8, 1, v8
	v_sub_u32_e32 v8, v12, v8
	v_mul_u32_u24_e32 v13, 0x126, v8
	v_mov_b32_e32 v3, v11
	v_lshlrev_b32_e32 v38, 2, v13
	v_lshl_add_u64 v[8:9], s[12:13], 0, v[2:3]
	v_add_u32_e32 v13, v2, v38
	s_load_dwordx2 s[2:3], s[0:1], 0x38
	v_cmp_gt_u16_e32 vcc, 7, v10
	s_load_dwordx4 s[4:7], s[6:7], 0x0
	s_waitcnt vmcnt(10)
	v_lshrrev_b32_e32 v2, 16, v4
	v_mul_f16_sdwa v3, v37, v4 dst_sel:DWORD dst_unused:UNUSED_PAD src0_sel:WORD_1 src1_sel:DWORD
	v_mul_f16_sdwa v16, v37, v2 dst_sel:DWORD dst_unused:UNUSED_PAD src0_sel:WORD_1 src1_sel:DWORD
	v_fma_f16 v2, v37, v2, -v3
	s_waitcnt vmcnt(9)
	v_lshrrev_b32_e32 v3, 16, v5
	s_waitcnt vmcnt(8)
	v_mul_f16_sdwa v17, v36, v5 dst_sel:DWORD dst_unused:UNUSED_PAD src0_sel:WORD_1 src1_sel:DWORD
	v_fma_f16 v4, v37, v4, v16
	v_mul_f16_sdwa v16, v36, v3 dst_sel:DWORD dst_unused:UNUSED_PAD src0_sel:WORD_1 src1_sel:DWORD
	v_fma_f16 v3, v36, v3, -v17
	s_waitcnt vmcnt(7)
	v_lshrrev_b32_e32 v17, 16, v6
	s_waitcnt vmcnt(6)
	v_mul_f16_sdwa v18, v35, v6 dst_sel:DWORD dst_unused:UNUSED_PAD src0_sel:WORD_1 src1_sel:DWORD
	v_pack_b32_f16 v2, v4, v2
	v_fma_f16 v4, v36, v5, v16
	v_mul_f16_sdwa v5, v35, v17 dst_sel:DWORD dst_unused:UNUSED_PAD src0_sel:WORD_1 src1_sel:DWORD
	v_fma_f16 v16, v35, v17, -v18
	s_waitcnt vmcnt(5)
	v_lshrrev_b32_e32 v17, 16, v7
	s_waitcnt vmcnt(4)
	v_mul_f16_sdwa v18, v34, v7 dst_sel:DWORD dst_unused:UNUSED_PAD src0_sel:WORD_1 src1_sel:DWORD
	v_pack_b32_f16 v3, v4, v3
	v_fma_f16 v4, v35, v6, v5
	v_mul_f16_sdwa v5, v34, v17 dst_sel:DWORD dst_unused:UNUSED_PAD src0_sel:WORD_1 src1_sel:DWORD
	v_fma_f16 v6, v34, v17, -v18
	s_waitcnt vmcnt(3)
	v_lshrrev_b32_e32 v17, 16, v14
	ds_write2_b32 v13, v2, v3 offset1:49
	v_fma_f16 v3, v34, v7, v5
	s_waitcnt vmcnt(1)
	v_lshrrev_b32_e32 v7, 16, v15
	v_mul_f16_sdwa v18, v33, v14 dst_sel:DWORD dst_unused:UNUSED_PAD src0_sel:WORD_1 src1_sel:DWORD
	v_pack_b32_f16 v2, v4, v16
	v_mul_f16_sdwa v4, v33, v17 dst_sel:DWORD dst_unused:UNUSED_PAD src0_sel:WORD_1 src1_sel:DWORD
	s_waitcnt vmcnt(0)
	v_mul_f16_sdwa v16, v32, v15 dst_sel:DWORD dst_unused:UNUSED_PAD src0_sel:WORD_1 src1_sel:DWORD
	v_pack_b32_f16 v3, v3, v6
	v_mul_f16_sdwa v6, v32, v7 dst_sel:DWORD dst_unused:UNUSED_PAD src0_sel:WORD_1 src1_sel:DWORD
	v_fma_f16 v5, v33, v17, -v18
	v_fma_f16 v4, v33, v14, v4
	v_fma_f16 v7, v32, v7, -v16
	ds_write2_b32 v13, v2, v3 offset0:98 offset1:147
	v_fma_f16 v3, v32, v15, v6
	v_pack_b32_f16 v2, v4, v5
	v_pack_b32_f16 v3, v3, v7
	ds_write2_b32 v13, v2, v3 offset0:196 offset1:245
	s_and_saveexec_b64 s[14:15], vcc
	s_cbranch_execz .LBB0_3
; %bb.2:
	v_mov_b32_e32 v2, 0xfffffcd4
	s_mulk_i32 s9, 0xfcd4
	v_mad_u64_u32 v[0:1], s[16:17], s8, v2, v[0:1]
	s_sub_i32 s8, s9, s8
	v_add_u32_e32 v1, s8, v1
	global_load_dword v2, v[0:1], off
	global_load_dword v3, v[8:9], off offset:168
	v_lshl_add_u64 v[0:1], v[0:1], 0, s[10:11]
	global_load_dword v4, v[0:1], off
	global_load_dword v5, v[8:9], off offset:364
	v_lshl_add_u64 v[0:1], v[0:1], 0, s[10:11]
	;; [unrolled: 3-line block ×5, first 2 shown]
	global_load_dword v18, v[0:1], off
	global_load_dword v19, v[8:9], off offset:1148
	s_waitcnt vmcnt(11)
	v_lshrrev_b32_e32 v0, 16, v2
	s_waitcnt vmcnt(10)
	v_mul_f16_sdwa v1, v3, v2 dst_sel:DWORD dst_unused:UNUSED_PAD src0_sel:WORD_1 src1_sel:DWORD
	v_mul_f16_sdwa v20, v3, v0 dst_sel:DWORD dst_unused:UNUSED_PAD src0_sel:WORD_1 src1_sel:DWORD
	v_fma_f16 v0, v3, v0, -v1
	s_waitcnt vmcnt(9)
	v_lshrrev_b32_e32 v1, 16, v4
	s_waitcnt vmcnt(8)
	v_mul_f16_sdwa v21, v5, v4 dst_sel:DWORD dst_unused:UNUSED_PAD src0_sel:WORD_1 src1_sel:DWORD
	v_fma_f16 v2, v3, v2, v20
	v_mul_f16_sdwa v3, v5, v1 dst_sel:DWORD dst_unused:UNUSED_PAD src0_sel:WORD_1 src1_sel:DWORD
	s_waitcnt vmcnt(7)
	v_lshrrev_b32_e32 v20, 16, v6
	v_fma_f16 v1, v5, v1, -v21
	s_waitcnt vmcnt(6)
	v_mul_f16_sdwa v21, v7, v6 dst_sel:DWORD dst_unused:UNUSED_PAD src0_sel:WORD_1 src1_sel:DWORD
	v_pack_b32_f16 v0, v2, v0
	v_fma_f16 v2, v5, v4, v3
	v_mul_f16_sdwa v3, v7, v20 dst_sel:DWORD dst_unused:UNUSED_PAD src0_sel:WORD_1 src1_sel:DWORD
	s_waitcnt vmcnt(5)
	v_lshrrev_b32_e32 v5, 16, v14
	v_fma_f16 v4, v7, v20, -v21
	s_waitcnt vmcnt(4)
	v_mul_f16_sdwa v20, v15, v14 dst_sel:DWORD dst_unused:UNUSED_PAD src0_sel:WORD_1 src1_sel:DWORD
	v_pack_b32_f16 v1, v2, v1
	v_fma_f16 v2, v7, v6, v3
	v_mul_f16_sdwa v3, v15, v5 dst_sel:DWORD dst_unused:UNUSED_PAD src0_sel:WORD_1 src1_sel:DWORD
	v_fma_f16 v5, v15, v5, -v20
	s_waitcnt vmcnt(3)
	v_lshrrev_b32_e32 v6, 16, v16
	s_waitcnt vmcnt(2)
	v_mul_f16_sdwa v7, v17, v16 dst_sel:DWORD dst_unused:UNUSED_PAD src0_sel:WORD_1 src1_sel:DWORD
	ds_write2_b32 v13, v0, v1 offset0:42 offset1:91
	v_pack_b32_f16 v0, v2, v4
	v_fma_f16 v1, v15, v14, v3
	s_waitcnt vmcnt(1)
	v_lshrrev_b32_e32 v4, 16, v18
	v_mul_f16_sdwa v2, v17, v6 dst_sel:DWORD dst_unused:UNUSED_PAD src0_sel:WORD_1 src1_sel:DWORD
	v_fma_f16 v3, v17, v6, -v7
	s_waitcnt vmcnt(0)
	v_mul_f16_sdwa v6, v19, v18 dst_sel:DWORD dst_unused:UNUSED_PAD src0_sel:WORD_1 src1_sel:DWORD
	v_pack_b32_f16 v1, v1, v5
	v_mul_f16_sdwa v5, v19, v4 dst_sel:DWORD dst_unused:UNUSED_PAD src0_sel:WORD_1 src1_sel:DWORD
	v_fma_f16 v2, v17, v16, v2
	v_fma_f16 v4, v19, v4, -v6
	ds_write2_b32 v13, v0, v1 offset0:140 offset1:189
	v_fma_f16 v1, v19, v18, v5
	v_pack_b32_f16 v0, v2, v3
	v_pack_b32_f16 v1, v1, v4
	v_add_u32_e32 v2, 0x200, v13
	ds_write2_b32 v2, v0, v1 offset0:110 offset1:159
.LBB0_3:
	s_or_b64 exec, exec, s[14:15]
	s_waitcnt lgkmcnt(0)
	s_barrier
	ds_read2_b32 v[0:1], v13 offset1:49
	ds_read2_b32 v[2:3], v13 offset0:98 offset1:147
	ds_read2_b32 v[6:7], v13 offset0:196 offset1:245
	s_load_dwordx2 s[0:1], s[0:1], 0x8
                                        ; implicit-def: $vgpr4
                                        ; implicit-def: $vgpr14
                                        ; implicit-def: $vgpr16
	s_and_saveexec_b64 s[8:9], vcc
	s_cbranch_execz .LBB0_5
; %bb.4:
	v_add_u32_e32 v16, 0x200, v13
	ds_read2_b32 v[4:5], v13 offset0:42 offset1:91
	ds_read2_b32 v[14:15], v13 offset0:140 offset1:189
	ds_read2_b32 v[16:17], v16 offset0:110 offset1:159
.LBB0_5:
	s_or_b64 exec, exec, s[8:9]
	v_lshl_add_u64 v[22:23], v[10:11], 0, 42
	s_waitcnt lgkmcnt(0)
	v_pk_add_f16 v11, v4, v14
	s_movk_i32 s8, 0x3aee
	v_pk_add_f16 v18, v11, v16
	v_pk_add_f16 v11, v14, v16
	;; [unrolled: 1-line block ×3, first 2 shown]
	v_pk_fma_f16 v4, v11, 0.5, v4 op_sel_hi:[1,0,1] neg_lo:[1,0,0] neg_hi:[1,0,0]
	v_pk_add_f16 v11, v14, v16 neg_lo:[0,1] neg_hi:[0,1]
	s_mov_b32 s10, 0xffff
	v_pk_mul_f16 v11, v11, s8 op_sel_hi:[1,0]
	v_pk_add_f16 v20, v19, v17
	v_pk_add_f16 v16, v4, v11 op_sel:[0,1] op_sel_hi:[1,0]
	v_pk_add_f16 v4, v4, v11 op_sel:[0,1] op_sel_hi:[1,0] neg_lo:[0,1] neg_hi:[0,1]
	v_pk_add_f16 v11, v15, v17
	s_mov_b32 s9, 0xbaee3aee
	v_pk_fma_f16 v5, v11, 0.5, v5 op_sel_hi:[1,0,1] neg_lo:[1,0,0] neg_hi:[1,0,0]
	v_pk_add_f16 v11, v15, v17 neg_lo:[0,1] neg_hi:[0,1]
	v_pk_add_f16 v23, v0, v2
	v_pk_fma_f16 v14, v11, s8, v5 op_sel:[0,0,1] op_sel_hi:[1,0,0]
	v_pk_fma_f16 v5, v11, s8, v5 op_sel:[0,0,1] op_sel_hi:[1,0,0] neg_lo:[1,0,0] neg_hi:[1,0,0]
	v_lshrrev_b32_e32 v15, 16, v14
	v_bfi_b32 v11, s10, v14, v5
	v_mul_f16_e32 v14, 0x3aee, v5
	v_fma_f16 v17, v15, 0.5, v14
	v_pk_mul_f16 v14, v11, 0.5 op_sel_hi:[1,0]
	v_pk_add_f16 v24, v1, v3
	v_pk_fma_f16 v25, v11, s9, v14 op_sel:[0,0,1] op_sel_hi:[1,1,0] neg_lo:[0,0,1] neg_hi:[0,0,1]
	v_mul_f16_e32 v11, 0xbaee, v15
	v_fma_f16 v5, v5, 0.5, v11
	v_bfi_b32 v11, s10, v16, v4
	v_pack_b32_f16 v14, v17, v5
	v_pk_add_f16 v14, v11, v14
	v_sub_f16_sdwa v11, v4, v5 dst_sel:DWORD dst_unused:UNUSED_PAD src0_sel:WORD_1 src1_sel:DWORD
	v_pk_add_f16 v5, v23, v6
	v_pk_add_f16 v23, v2, v6
	v_bfi_b32 v19, s10, v4, v16
	v_pk_fma_f16 v0, v23, 0.5, v0 op_sel_hi:[1,0,1] neg_lo:[1,0,0] neg_hi:[1,0,0]
	v_pk_add_f16 v23, v3, v7
	v_pk_add_f16 v3, v3, v7 neg_lo:[0,1] neg_hi:[0,1]
	v_pk_fma_f16 v1, v23, 0.5, v1 op_sel_hi:[1,0,1] neg_lo:[1,0,0] neg_hi:[1,0,0]
	v_sub_f16_e32 v17, v16, v17
	v_pk_add_f16 v16, v24, v7
	v_pk_fma_f16 v7, v3, s8, v1 op_sel:[0,0,1] op_sel_hi:[1,0,0]
	v_pk_fma_f16 v1, v3, s8, v1 op_sel:[0,0,1] op_sel_hi:[1,0,0] neg_lo:[1,0,0] neg_hi:[1,0,0]
	v_pk_add_f16 v2, v2, v6 neg_lo:[0,1] neg_hi:[0,1]
	v_lshrrev_b32_e32 v23, 16, v7
	v_bfi_b32 v3, s10, v7, v1
	v_mul_f16_e32 v7, 0x3aee, v1
	v_pk_mul_f16 v2, v2, s8 op_sel_hi:[1,0]
	v_fma_f16 v7, v23, 0.5, v7
	v_mul_f16_e32 v23, 0xbaee, v23
	v_pk_add_f16 v6, v0, v2 op_sel:[0,1] op_sel_hi:[1,0]
	v_pk_add_f16 v2, v0, v2 op_sel:[0,1] op_sel_hi:[1,0] neg_lo:[0,1] neg_hi:[0,1]
	v_fma_f16 v23, v1, 0.5, v23
	v_pk_mul_f16 v1, v3, 0.5 op_sel_hi:[1,0]
	v_pk_add_f16 v15, v19, v25
	v_pk_add_f16 v19, v19, v25 neg_lo:[0,1] neg_hi:[0,1]
	v_mul_u32_u24_e32 v4, 6, v10
	v_bfi_b32 v0, s10, v2, v6
	v_add_f16_e32 v25, v6, v7
	v_add_f16_sdwa v26, v2, v23 dst_sel:DWORD dst_unused:UNUSED_PAD src0_sel:WORD_1 src1_sel:DWORD
	v_pk_fma_f16 v3, v3, s9, v1 op_sel:[0,0,1] op_sel_hi:[1,1,0] neg_lo:[0,0,1] neg_hi:[0,0,1]
	v_lshl_add_u32 v40, v4, 2, v38
	v_pk_add_f16 v24, v5, v16
	v_pk_add_f16 v0, v0, v3
	v_pk_add_f16 v1, v5, v16 neg_lo:[0,1] neg_hi:[0,1]
	v_pack_b32_f16 v25, v25, v26
	s_barrier
	ds_write2_b64 v40, v[24:25], v[0:1] offset1:1
	v_pack_b32_f16 v0, v23, v3
	v_sub_f16_e32 v7, v6, v7
	v_sub_f16_sdwa v6, v6, v3 dst_sel:DWORD dst_unused:UNUSED_PAD src0_sel:WORD_1 src1_sel:WORD_1
	v_pk_add_f16 v0, v2, v0 op_sel:[1,0] op_sel_hi:[0,1] neg_lo:[0,1] neg_hi:[0,1]
	v_pk_add_f16 v21, v18, v20 neg_lo:[0,1] neg_hi:[0,1]
	v_alignbit_b32 v1, v6, v0, 16
	v_pack_b32_f16 v0, v7, v0
	v_mul_u32_u24_e32 v39, 6, v22
	ds_write_b64 v40, v[0:1] offset:16
	s_and_saveexec_b64 s[8:9], vcc
	s_cbranch_execz .LBB0_7
; %bb.6:
	v_pk_add_f16 v0, v18, v20
	v_bfi_b32 v1, s10, v14, v14
	v_bfi_b32 v20, s10, v15, v15
	s_mov_b32 s10, 0x5040100
	v_lshl_add_u32 v2, v39, 2, v38
	v_perm_b32 v18, v11, v17, s10
	ds_write2_b64 v2, v[0:1], v[20:21] offset1:1
	ds_write_b64 v2, v[18:19] offset:16
.LBB0_7:
	s_or_b64 exec, exec, s[8:9]
	s_movk_i32 s8, 0xab
	v_mul_lo_u16_sdwa v0, v10, s8 dst_sel:DWORD dst_unused:UNUSED_PAD src0_sel:BYTE_0 src1_sel:DWORD
	v_lshrrev_b16_e32 v5, 10, v0
	v_mul_lo_u16_e32 v0, 6, v5
	v_sub_u16_e32 v16, v10, v0
	v_mov_b32_e32 v0, 6
	v_mul_u32_u24_sdwa v0, v16, v0 dst_sel:DWORD dst_unused:UNUSED_PAD src0_sel:BYTE_0 src1_sel:DWORD
	v_lshlrev_b32_e32 v6, 2, v0
	s_waitcnt lgkmcnt(0)
	s_barrier
	global_load_dwordx4 v[0:3], v6, s[0:1]
	global_load_dwordx2 v[22:23], v6, s[0:1] offset:16
	ds_read2_b32 v[6:7], v13 offset1:42
	ds_read2_b32 v[24:25], v13 offset0:84 offset1:126
	ds_read2_b32 v[26:27], v13 offset0:168 offset1:210
	ds_read_b32 v18, v13 offset:1008
	s_movk_i32 s9, 0x2b26
	s_waitcnt lgkmcnt(3)
	v_lshrrev_b32_e32 v20, 16, v7
	s_waitcnt lgkmcnt(2)
	v_lshrrev_b32_e32 v28, 16, v24
	;; [unrolled: 2-line block ×4, first 2 shown]
	v_lshrrev_b32_e32 v29, 16, v25
	v_lshrrev_b32_e32 v30, 16, v26
	s_mov_b32 s10, 0xbcab
	s_movk_i32 s11, 0x39e0
	s_mov_b32 s14, 0xb9e0
	s_movk_i32 s15, 0x3574
	s_movk_i32 s8, 0x3b00
	s_mov_b32 s16, 0xb574
	s_movk_i32 s17, 0x370e
	v_mul_u32_u24_e32 v5, 42, v5
	v_add_u32_sdwa v5, v5, v16 dst_sel:DWORD dst_unused:UNUSED_PAD src0_sel:DWORD src1_sel:BYTE_0
	s_barrier
	v_lshlrev_b32_e32 v16, 2, v4
	s_waitcnt vmcnt(1)
	v_mul_f16_sdwa v42, v20, v0 dst_sel:DWORD dst_unused:UNUSED_PAD src0_sel:DWORD src1_sel:WORD_1
	v_mul_f16_sdwa v43, v7, v0 dst_sel:DWORD dst_unused:UNUSED_PAD src0_sel:DWORD src1_sel:WORD_1
	;; [unrolled: 1-line block ×4, first 2 shown]
	s_waitcnt vmcnt(0)
	v_mul_f16_sdwa v50, v31, v22 dst_sel:DWORD dst_unused:UNUSED_PAD src0_sel:DWORD src1_sel:WORD_1
	v_mul_f16_sdwa v51, v27, v22 dst_sel:DWORD dst_unused:UNUSED_PAD src0_sel:DWORD src1_sel:WORD_1
	;; [unrolled: 1-line block ×8, first 2 shown]
	v_fma_f16 v7, v7, v0, -v42
	v_fma_f16 v20, v20, v0, v43
	v_fma_f16 v24, v24, v1, -v44
	v_fma_f16 v28, v28, v1, v45
	;; [unrolled: 2-line block ×6, first 2 shown]
	v_add_f16_e32 v42, v7, v18
	v_add_f16_e32 v43, v20, v41
	v_sub_f16_e32 v7, v7, v18
	v_sub_f16_e32 v18, v20, v41
	v_add_f16_e32 v20, v24, v27
	v_add_f16_e32 v41, v28, v31
	v_sub_f16_e32 v24, v24, v27
	v_sub_f16_e32 v27, v28, v31
	;; [unrolled: 4-line block ×4, first 2 shown]
	v_sub_f16_e32 v42, v42, v28
	v_sub_f16_e32 v43, v43, v31
	;; [unrolled: 1-line block ×4, first 2 shown]
	v_add_f16_e32 v46, v25, v24
	v_add_f16_e32 v47, v26, v27
	v_sub_f16_e32 v48, v25, v24
	v_sub_f16_e32 v49, v26, v27
	v_add_f16_e32 v28, v28, v29
	v_add_f16_e32 v29, v31, v30
	v_sub_f16_e32 v25, v7, v25
	v_sub_f16_e32 v26, v18, v26
	v_sub_f16_e32 v24, v24, v7
	v_sub_f16_e32 v27, v27, v18
	v_add_f16_e32 v7, v46, v7
	v_add_f16_e32 v18, v47, v18
	v_mul_f16_e32 v30, 0x3a52, v42
	v_mul_f16_e32 v31, 0x3a52, v43
	v_mul_f16_e32 v42, 0x2b26, v20
	v_mul_f16_e32 v43, 0x2b26, v41
	v_mul_f16_e32 v46, 0xb846, v48
	v_mul_f16_e32 v47, 0xb846, v49
	v_add_f16_e32 v50, v6, v28
	v_add_f16_sdwa v6, v6, v29 dst_sel:DWORD dst_unused:UNUSED_PAD src0_sel:WORD_1 src1_sel:DWORD
	v_mul_f16_e32 v48, 0x3b00, v24
	v_mul_f16_e32 v49, 0x3b00, v27
	v_fma_f16 v28, v28, s10, v50
	v_fma_f16 v29, v29, s10, v6
	;; [unrolled: 1-line block ×4, first 2 shown]
	v_fma_f16 v42, v44, s11, -v42
	v_fma_f16 v43, v45, s11, -v43
	;; [unrolled: 1-line block ×4, first 2 shown]
	v_fma_f16 v44, v25, s15, v46
	v_fma_f16 v45, v26, s15, v47
	v_fma_f16 v24, v24, s8, -v46
	v_fma_f16 v27, v27, s8, -v47
	;; [unrolled: 1-line block ×4, first 2 shown]
	v_add_f16_e32 v20, v20, v28
	v_add_f16_e32 v41, v41, v29
	;; [unrolled: 1-line block ×6, first 2 shown]
	v_fma_f16 v30, v7, s17, v44
	v_fma_f16 v31, v18, s17, v45
	;; [unrolled: 1-line block ×6, first 2 shown]
	v_add_f16_e32 v25, v31, v20
	v_sub_f16_e32 v26, v41, v30
	v_add_f16_e32 v44, v18, v28
	v_sub_f16_e32 v45, v29, v7
	v_sub_f16_e32 v46, v42, v27
	v_add_f16_e32 v47, v24, v43
	v_sub_f16_e32 v28, v28, v18
	v_lshl_add_u32 v18, v5, 2, v38
	v_pack_b32_f16 v5, v50, v6
	v_pack_b32_f16 v6, v25, v26
	v_add_f16_e32 v27, v27, v42
	v_sub_f16_e32 v24, v43, v24
	v_add_f16_e32 v7, v7, v29
	ds_write2_b32 v18, v5, v6 offset1:6
	v_pack_b32_f16 v5, v44, v45
	v_pack_b32_f16 v6, v46, v47
	v_sub_f16_e32 v20, v20, v31
	v_add_f16_e32 v29, v30, v41
	ds_write2_b32 v18, v5, v6 offset0:12 offset1:18
	v_pack_b32_f16 v5, v27, v24
	v_pack_b32_f16 v6, v28, v7
	ds_write2_b32 v18, v5, v6 offset0:24 offset1:30
	v_pack_b32_f16 v5, v20, v29
	ds_write_b32 v18, v5 offset:144
	s_waitcnt lgkmcnt(0)
	s_barrier
	global_load_dwordx4 v[4:7], v16, s[0:1] offset:144
	global_load_dwordx2 v[24:25], v16, s[0:1] offset:160
	ds_read2_b32 v[26:27], v13 offset1:42
	ds_read2_b32 v[28:29], v13 offset0:84 offset1:126
	ds_read2_b32 v[30:31], v13 offset0:168 offset1:210
	ds_read_b32 v16, v13 offset:1008
	s_waitcnt lgkmcnt(3)
	v_lshrrev_b32_e32 v20, 16, v27
	s_waitcnt lgkmcnt(2)
	v_lshrrev_b32_e32 v41, 16, v28
	;; [unrolled: 2-line block ×3, first 2 shown]
	v_lshrrev_b32_e32 v44, 16, v31
	s_waitcnt lgkmcnt(0)
	v_lshrrev_b32_e32 v45, 16, v16
	v_lshrrev_b32_e32 v42, 16, v29
	s_waitcnt vmcnt(1)
	v_mul_f16_sdwa v46, v20, v4 dst_sel:DWORD dst_unused:UNUSED_PAD src0_sel:DWORD src1_sel:WORD_1
	v_mul_f16_sdwa v47, v27, v4 dst_sel:DWORD dst_unused:UNUSED_PAD src0_sel:DWORD src1_sel:WORD_1
	v_fma_f16 v27, v27, v4, -v46
	v_mul_f16_sdwa v46, v43, v7 dst_sel:DWORD dst_unused:UNUSED_PAD src0_sel:DWORD src1_sel:WORD_1
	v_fma_f16 v46, v30, v7, -v46
	v_mul_f16_sdwa v30, v30, v7 dst_sel:DWORD dst_unused:UNUSED_PAD src0_sel:DWORD src1_sel:WORD_1
	v_fma_f16 v30, v43, v7, v30
	s_waitcnt vmcnt(0)
	v_mul_f16_sdwa v43, v44, v24 dst_sel:DWORD dst_unused:UNUSED_PAD src0_sel:DWORD src1_sel:WORD_1
	v_fma_f16 v43, v31, v24, -v43
	v_mul_f16_sdwa v31, v31, v24 dst_sel:DWORD dst_unused:UNUSED_PAD src0_sel:DWORD src1_sel:WORD_1
	v_fma_f16 v31, v44, v24, v31
	v_mul_f16_sdwa v44, v45, v25 dst_sel:DWORD dst_unused:UNUSED_PAD src0_sel:DWORD src1_sel:WORD_1
	v_mul_f16_sdwa v48, v41, v5 dst_sel:DWORD dst_unused:UNUSED_PAD src0_sel:DWORD src1_sel:WORD_1
	;; [unrolled: 1-line block ×3, first 2 shown]
	v_fma_f16 v44, v16, v25, -v44
	v_mul_f16_sdwa v16, v16, v25 dst_sel:DWORD dst_unused:UNUSED_PAD src0_sel:DWORD src1_sel:WORD_1
	v_mul_f16_sdwa v50, v42, v6 dst_sel:DWORD dst_unused:UNUSED_PAD src0_sel:DWORD src1_sel:WORD_1
	;; [unrolled: 1-line block ×3, first 2 shown]
	v_fma_f16 v20, v20, v4, v47
	v_fma_f16 v28, v28, v5, -v48
	v_fma_f16 v41, v41, v5, v49
	v_fma_f16 v16, v45, v25, v16
	v_fma_f16 v29, v29, v6, -v50
	v_fma_f16 v42, v42, v6, v51
	v_add_f16_e32 v45, v27, v44
	v_add_f16_e32 v47, v20, v16
	v_sub_f16_e32 v27, v27, v44
	v_sub_f16_e32 v16, v20, v16
	v_add_f16_e32 v20, v28, v43
	v_add_f16_e32 v44, v41, v31
	v_sub_f16_e32 v28, v28, v43
	v_sub_f16_e32 v31, v41, v31
	;; [unrolled: 4-line block ×4, first 2 shown]
	v_sub_f16_e32 v45, v45, v41
	v_sub_f16_e32 v47, v47, v43
	;; [unrolled: 1-line block ×4, first 2 shown]
	v_add_f16_e32 v50, v29, v28
	v_add_f16_e32 v51, v30, v31
	v_sub_f16_e32 v52, v29, v28
	v_sub_f16_e32 v53, v30, v31
	v_add_f16_e32 v41, v41, v42
	v_add_f16_e32 v42, v43, v46
	v_sub_f16_e32 v29, v27, v29
	v_sub_f16_e32 v30, v16, v30
	;; [unrolled: 1-line block ×4, first 2 shown]
	v_add_f16_e32 v27, v50, v27
	v_add_f16_e32 v16, v51, v16
	;; [unrolled: 1-line block ×3, first 2 shown]
	v_add_f16_sdwa v26, v26, v42 dst_sel:DWORD dst_unused:UNUSED_PAD src0_sel:WORD_1 src1_sel:DWORD
	v_mul_f16_e32 v45, 0x3a52, v45
	v_mul_f16_e32 v46, 0x3a52, v47
	;; [unrolled: 1-line block ×8, first 2 shown]
	v_fma_f16 v41, v41, s10, v43
	v_fma_f16 v42, v42, s10, v26
	;; [unrolled: 1-line block ×4, first 2 shown]
	v_fma_f16 v47, v48, s11, -v47
	v_fma_f16 v50, v49, s11, -v50
	;; [unrolled: 1-line block ×4, first 2 shown]
	v_fma_f16 v48, v29, s15, v51
	v_fma_f16 v49, v30, s15, v52
	v_fma_f16 v28, v28, s8, -v51
	v_fma_f16 v31, v31, s8, -v52
	v_fma_f16 v29, v29, s16, -v53
	v_fma_f16 v30, v30, s16, -v54
	v_add_f16_e32 v20, v20, v41
	v_add_f16_e32 v44, v44, v42
	;; [unrolled: 1-line block ×6, first 2 shown]
	v_fma_f16 v45, v27, s17, v48
	v_fma_f16 v46, v16, s17, v49
	;; [unrolled: 1-line block ×6, first 2 shown]
	v_add_f16_e32 v29, v46, v20
	v_sub_f16_e32 v30, v44, v45
	v_add_f16_e32 v48, v16, v41
	v_sub_f16_e32 v49, v42, v27
	v_sub_f16_e32 v51, v47, v31
	v_add_f16_e32 v52, v28, v50
	v_pack_b32_f16 v26, v43, v26
	v_pack_b32_f16 v29, v29, v30
	v_add_f16_e32 v31, v31, v47
	v_sub_f16_e32 v28, v50, v28
	v_sub_f16_e32 v16, v41, v16
	v_add_f16_e32 v27, v27, v42
	ds_write2_b32 v13, v26, v29 offset1:42
	v_pack_b32_f16 v26, v48, v49
	v_pack_b32_f16 v29, v51, v52
	v_sub_f16_e32 v20, v20, v46
	v_add_f16_e32 v41, v45, v44
	ds_write2_b32 v13, v26, v29 offset0:84 offset1:126
	v_pack_b32_f16 v26, v31, v28
	v_pack_b32_f16 v16, v16, v27
	ds_write2_b32 v13, v26, v16 offset0:168 offset1:210
	v_pack_b32_f16 v16, v20, v41
	ds_write_b32 v13, v16 offset:1008
	s_waitcnt lgkmcnt(0)
	s_barrier
	global_load_dword v16, v[8:9], off offset:1176
	s_add_u32 s8, s12, 0x498
	s_addc_u32 s9, s13, 0
	v_lshlrev_b32_e32 v26, 2, v10
	global_load_dword v27, v26, s[8:9] offset:196
	global_load_dword v42, v26, s[8:9] offset:392
	;; [unrolled: 1-line block ×5, first 2 shown]
	ds_read2_b32 v[28:29], v13 offset1:49
	s_waitcnt lgkmcnt(0)
	v_lshrrev_b32_e32 v30, 16, v28
	s_waitcnt vmcnt(5)
	v_mul_f16_sdwa v31, v30, v16 dst_sel:DWORD dst_unused:UNUSED_PAD src0_sel:DWORD src1_sel:WORD_1
	v_fma_f16 v31, v28, v16, -v31
	v_mul_f16_sdwa v28, v28, v16 dst_sel:DWORD dst_unused:UNUSED_PAD src0_sel:DWORD src1_sel:WORD_1
	v_fma_f16 v16, v30, v16, v28
	v_lshrrev_b32_e32 v28, 16, v29
	s_waitcnt vmcnt(4)
	v_mul_f16_sdwa v30, v28, v27 dst_sel:DWORD dst_unused:UNUSED_PAD src0_sel:DWORD src1_sel:WORD_1
	v_pack_b32_f16 v16, v31, v16
	v_fma_f16 v46, v29, v27, -v30
	ds_read2_b32 v[30:31], v13 offset0:98 offset1:147
	v_mul_f16_sdwa v29, v29, v27 dst_sel:DWORD dst_unused:UNUSED_PAD src0_sel:DWORD src1_sel:WORD_1
	v_fma_f16 v27, v28, v27, v29
	v_pack_b32_f16 v27, v46, v27
	ds_write2_b32 v13, v16, v27 offset1:49
	s_waitcnt lgkmcnt(1)
	v_lshrrev_b32_e32 v16, 16, v30
	s_waitcnt vmcnt(3)
	v_mul_f16_sdwa v27, v16, v42 dst_sel:DWORD dst_unused:UNUSED_PAD src0_sel:DWORD src1_sel:WORD_1
	v_mul_f16_sdwa v28, v30, v42 dst_sel:DWORD dst_unused:UNUSED_PAD src0_sel:DWORD src1_sel:WORD_1
	v_fma_f16 v27, v30, v42, -v27
	v_fma_f16 v16, v16, v42, v28
	v_pack_b32_f16 v16, v27, v16
	v_lshrrev_b32_e32 v27, 16, v31
	s_waitcnt vmcnt(2)
	v_mul_f16_sdwa v28, v27, v43 dst_sel:DWORD dst_unused:UNUSED_PAD src0_sel:DWORD src1_sel:WORD_1
	v_fma_f16 v30, v31, v43, -v28
	ds_read2_b32 v[28:29], v13 offset0:196 offset1:245
	v_mul_f16_sdwa v31, v31, v43 dst_sel:DWORD dst_unused:UNUSED_PAD src0_sel:DWORD src1_sel:WORD_1
	v_fma_f16 v27, v27, v43, v31
	v_pack_b32_f16 v27, v30, v27
	ds_write2_b32 v13, v16, v27 offset0:98 offset1:147
	s_waitcnt lgkmcnt(1)
	v_lshrrev_b32_e32 v16, 16, v28
	s_waitcnt vmcnt(1)
	v_mul_f16_sdwa v27, v16, v44 dst_sel:DWORD dst_unused:UNUSED_PAD src0_sel:DWORD src1_sel:WORD_1
	v_fma_f16 v27, v28, v44, -v27
	v_mul_f16_sdwa v28, v28, v44 dst_sel:DWORD dst_unused:UNUSED_PAD src0_sel:DWORD src1_sel:WORD_1
	v_fma_f16 v16, v16, v44, v28
	v_pack_b32_f16 v16, v27, v16
	v_lshrrev_b32_e32 v27, 16, v29
	s_waitcnt vmcnt(0)
	v_mul_f16_sdwa v28, v27, v45 dst_sel:DWORD dst_unused:UNUSED_PAD src0_sel:DWORD src1_sel:WORD_1
	v_fma_f16 v28, v29, v45, -v28
	v_mul_f16_sdwa v29, v29, v45 dst_sel:DWORD dst_unused:UNUSED_PAD src0_sel:DWORD src1_sel:WORD_1
	v_fma_f16 v27, v27, v45, v29
	v_pack_b32_f16 v27, v28, v27
	ds_write2_b32 v13, v16, v27 offset0:196 offset1:245
	s_and_saveexec_b64 s[0:1], vcc
	s_cbranch_execz .LBB0_9
; %bb.8:
	v_mov_b32_e32 v27, 0
	v_lshl_add_u64 v[26:27], s[8:9], 0, v[26:27]
	global_load_dword v16, v[26:27], off offset:168
	global_load_dword v42, v[26:27], off offset:364
	;; [unrolled: 1-line block ×6, first 2 shown]
	v_add_u32_e32 v47, 0x200, v13
	ds_read2_b32 v[26:27], v13 offset0:42 offset1:91
	ds_read2_b32 v[28:29], v13 offset0:140 offset1:189
	;; [unrolled: 1-line block ×3, first 2 shown]
	s_waitcnt lgkmcnt(2)
	v_lshrrev_b32_e32 v48, 16, v26
	v_lshrrev_b32_e32 v49, 16, v27
	s_waitcnt lgkmcnt(1)
	v_lshrrev_b32_e32 v50, 16, v28
	v_lshrrev_b32_e32 v51, 16, v29
	;; [unrolled: 3-line block ×3, first 2 shown]
	s_waitcnt vmcnt(5)
	v_mul_f16_sdwa v54, v48, v16 dst_sel:DWORD dst_unused:UNUSED_PAD src0_sel:DWORD src1_sel:WORD_1
	v_mul_f16_sdwa v55, v26, v16 dst_sel:DWORD dst_unused:UNUSED_PAD src0_sel:DWORD src1_sel:WORD_1
	s_waitcnt vmcnt(4)
	v_mul_f16_sdwa v56, v49, v42 dst_sel:DWORD dst_unused:UNUSED_PAD src0_sel:DWORD src1_sel:WORD_1
	v_mul_f16_sdwa v57, v27, v42 dst_sel:DWORD dst_unused:UNUSED_PAD src0_sel:DWORD src1_sel:WORD_1
	;; [unrolled: 3-line block ×6, first 2 shown]
	v_fma_f16 v26, v26, v16, -v54
	v_fma_f16 v16, v48, v16, v55
	v_fma_f16 v27, v27, v42, -v56
	v_fma_f16 v42, v49, v42, v57
	;; [unrolled: 2-line block ×6, first 2 shown]
	v_pack_b32_f16 v16, v26, v16
	v_pack_b32_f16 v26, v27, v42
	;; [unrolled: 1-line block ×6, first 2 shown]
	ds_write2_b32 v13, v16, v26 offset0:42 offset1:91
	ds_write2_b32 v13, v27, v28 offset0:140 offset1:189
	;; [unrolled: 1-line block ×3, first 2 shown]
.LBB0_9:
	s_or_b64 exec, exec, s[0:1]
	s_waitcnt lgkmcnt(0)
	s_barrier
	ds_read2_b32 v[26:27], v13 offset1:49
	ds_read2_b32 v[28:29], v13 offset0:98 offset1:147
	ds_read2_b32 v[30:31], v13 offset0:196 offset1:245
	v_lshrrev_b32_e32 v43, 16, v14
	v_lshrrev_b32_e32 v42, 16, v15
	s_and_saveexec_b64 s[0:1], vcc
	s_cbranch_execz .LBB0_11
; %bb.10:
	v_lshl_add_u32 v11, v10, 2, v38
	ds_read_b32 v20, v13 offset:168
	ds_read2_b32 v[14:15], v11 offset0:91 offset1:140
	ds_read2_b32 v[16:17], v11 offset0:189 offset1:238
	ds_read_b32 v19, v11 offset:1148
	s_waitcnt lgkmcnt(3)
	v_lshrrev_b32_e32 v41, 16, v20
	s_waitcnt lgkmcnt(2)
	v_lshrrev_b32_e32 v43, 16, v14
	v_lshrrev_b32_e32 v42, 16, v15
	s_waitcnt lgkmcnt(1)
	v_lshrrev_b32_e32 v11, 16, v17
	v_mov_b32_e32 v21, v16
.LBB0_11:
	s_or_b64 exec, exec, s[0:1]
	s_waitcnt lgkmcnt(0)
	v_pk_add_f16 v46, v28, v30
	v_pk_add_f16 v16, v26, v28
	v_pk_fma_f16 v26, v46, 0.5, v26 op_sel_hi:[1,0,1] neg_lo:[1,0,0] neg_hi:[1,0,0]
	v_pk_add_f16 v28, v28, v30 neg_lo:[0,1] neg_hi:[0,1]
	s_movk_i32 s8, 0x3aee
	v_pk_add_f16 v16, v16, v30
	v_pk_fma_f16 v30, v28, s8, v26 op_sel:[0,0,1] op_sel_hi:[1,0,0] neg_lo:[1,0,0] neg_hi:[1,0,0]
	v_pk_fma_f16 v28, v28, s8, v26 op_sel:[0,0,1] op_sel_hi:[1,0,0]
	v_pk_add_f16 v26, v29, v31
	v_pk_add_f16 v44, v27, v29
	v_pk_fma_f16 v26, v26, 0.5, v27 op_sel_hi:[1,0,1] neg_lo:[1,0,0] neg_hi:[1,0,0]
	v_pk_add_f16 v27, v29, v31 neg_lo:[0,1] neg_hi:[0,1]
	v_pk_add_f16 v45, v44, v31
	v_pk_fma_f16 v29, v27, s8, v26 op_sel:[0,0,1] op_sel_hi:[1,0,0]
	v_pk_fma_f16 v26, v27, s8, v26 op_sel:[0,0,1] op_sel_hi:[1,0,0] neg_lo:[1,0,0] neg_hi:[1,0,0]
	v_mul_f16_e32 v31, 0x3aee, v29
	v_lshrrev_b32_e32 v27, 16, v26
	v_fma_f16 v31, v27, 0.5, -v31
	v_pk_mul_f16 v27, v26, s8 op_sel_hi:[1,0]
	s_mov_b32 s0, 0xb8003800
	v_pk_fma_f16 v47, v29, s0, v27 op_sel:[0,0,1] op_sel_hi:[1,1,0]
	v_pk_fma_f16 v48, v29, s0, v27 op_sel:[0,0,1] op_sel_hi:[1,1,0] neg_lo:[0,0,1] neg_hi:[0,0,1]
	s_mov_b32 s14, 0xffff
	v_bfi_b32 v27, s14, v47, v48
	v_pk_add_f16 v49, v28, v27
	v_lshrrev_b32_e32 v27, 16, v29
	v_mul_f16_e32 v26, -0.5, v26
	v_fma_f16 v29, v27, s8, v26
	v_add_f16_sdwa v46, v30, v31 dst_sel:DWORD dst_unused:UNUSED_PAD src0_sel:WORD_1 src1_sel:DWORD
	v_add_f16_e32 v26, v30, v29
	v_pk_add_f16 v44, v16, v45
	v_pk_add_f16 v27, v16, v45 neg_lo:[0,1] neg_hi:[0,1]
	v_alignbit_b32 v26, v26, v49, 16
	v_pack_b32_f16 v45, v46, v49
	s_barrier
	ds_write2_b64 v40, v[44:45], v[26:27] offset1:1
	v_alignbit_b32 v16, v28, v30, 16
	v_pack_b32_f16 v26, v31, v47
	v_pk_add_f16 v26, v16, v26 neg_lo:[0,1] neg_hi:[0,1]
	v_alignbit_b32 v16, v30, v28, 16
	v_alignbit_b32 v27, v29, v48, 16
	v_pk_add_f16 v27, v16, v27 neg_lo:[0,1] neg_hi:[0,1]
	ds_write_b64 v40, v[26:27] offset:16
	s_and_saveexec_b64 s[0:1], vcc
	s_cbranch_execz .LBB0_13
; %bb.12:
	v_add_f16_e32 v16, v42, v11
	v_add_f16_e32 v28, v21, v19
	v_add_f16_sdwa v31, v21, v19 dst_sel:DWORD dst_unused:UNUSED_PAD src0_sel:WORD_1 src1_sel:WORD_1
	v_fma_f16 v16, v16, -0.5, v41
	v_sub_f16_e32 v26, v15, v17
	s_mov_b32 s9, 0xbaee
	v_fma_f16 v28, v28, -0.5, v14
	v_sub_f16_sdwa v29, v21, v19 dst_sel:DWORD dst_unused:UNUSED_PAD src0_sel:WORD_1 src1_sel:WORD_1
	v_fma_f16 v31, v31, -0.5, v43
	v_sub_f16_e32 v40, v21, v19
	v_fma_f16 v27, v26, s9, v16
	v_fma_f16 v30, v29, s8, v28
	;; [unrolled: 1-line block ×6, first 2 shown]
	v_add_f16_e32 v40, v41, v42
	v_add_f16_e32 v47, v15, v17
	v_mul_f16_e32 v45, -0.5, v44
	v_mul_f16_e32 v29, 0.5, v28
	v_add_f16_e32 v40, v40, v11
	v_add_f16_sdwa v41, v43, v21 dst_sel:DWORD dst_unused:UNUSED_PAD src0_sel:DWORD src1_sel:WORD_1
	v_fma_f16 v47, v47, -0.5, v20
	v_sub_f16_e32 v11, v42, v11
	v_mul_f16_e32 v44, 0xbaee, v44
	v_mul_f16_e32 v28, 0xbaee, v28
	v_add_f16_e32 v15, v20, v15
	v_add_f16_e32 v14, v14, v21
	v_fma_f16 v45, v30, s8, v45
	v_fma_f16 v29, v26, s8, v29
	v_add_f16_sdwa v41, v41, v19 dst_sel:DWORD dst_unused:UNUSED_PAD src0_sel:DWORD src1_sel:WORD_1
	v_fma_f16 v42, v11, s8, v47
	v_fma_f16 v30, v30, -0.5, v44
	v_fma_f16 v11, v11, s9, v47
	v_fma_f16 v26, v26, 0.5, v28
	v_add_f16_e32 v15, v15, v17
	v_add_f16_e32 v14, v14, v19
	v_sub_f16_e32 v31, v16, v29
	v_sub_f16_e32 v43, v40, v41
	;; [unrolled: 1-line block ×4, first 2 shown]
	v_add_f16_e32 v17, v27, v45
	v_add_f16_e32 v16, v16, v29
	;; [unrolled: 1-line block ×6, first 2 shown]
	v_sub_f16_e32 v46, v27, v45
	v_sub_f16_e32 v44, v42, v30
	v_lshl_add_u32 v27, v39, 2, v38
	v_pack_b32_f16 v14, v21, v17
	v_pack_b32_f16 v17, v11, v16
	;; [unrolled: 1-line block ×4, first 2 shown]
	ds_write2_b64 v27, v[16:17], v[14:15] offset1:1
	v_pack_b32_f16 v15, v44, v46
	v_pack_b32_f16 v14, v28, v31
	ds_write_b64 v27, v[14:15] offset:16
.LBB0_13:
	s_or_b64 exec, exec, s[0:1]
	s_waitcnt lgkmcnt(0)
	s_barrier
	ds_read2_b32 v[14:15], v13 offset1:42
	ds_read2_b32 v[16:17], v13 offset0:84 offset1:126
	ds_read2_b32 v[20:21], v13 offset0:168 offset1:210
	ds_read_b32 v19, v13 offset:1008
	s_movk_i32 s0, 0x2b26
	s_waitcnt lgkmcnt(3)
	v_lshrrev_b32_e32 v11, 16, v15
	v_mul_f16_sdwa v31, v0, v11 dst_sel:DWORD dst_unused:UNUSED_PAD src0_sel:WORD_1 src1_sel:DWORD
	s_waitcnt lgkmcnt(2)
	v_lshrrev_b32_e32 v26, 16, v16
	v_fma_f16 v31, v0, v15, v31
	v_mul_f16_sdwa v15, v0, v15 dst_sel:DWORD dst_unused:UNUSED_PAD src0_sel:WORD_1 src1_sel:DWORD
	v_lshrrev_b32_e32 v27, 16, v17
	v_fma_f16 v0, v0, v11, -v15
	v_mul_f16_sdwa v11, v1, v26 dst_sel:DWORD dst_unused:UNUSED_PAD src0_sel:WORD_1 src1_sel:DWORD
	v_mul_f16_sdwa v15, v1, v16 dst_sel:DWORD dst_unused:UNUSED_PAD src0_sel:WORD_1 src1_sel:DWORD
	s_waitcnt lgkmcnt(1)
	v_lshrrev_b32_e32 v28, 16, v20
	v_fma_f16 v11, v1, v16, v11
	v_fma_f16 v1, v1, v26, -v15
	v_mul_f16_sdwa v15, v2, v27 dst_sel:DWORD dst_unused:UNUSED_PAD src0_sel:WORD_1 src1_sel:DWORD
	v_mul_f16_sdwa v16, v2, v17 dst_sel:DWORD dst_unused:UNUSED_PAD src0_sel:WORD_1 src1_sel:DWORD
	v_lshrrev_b32_e32 v29, 16, v21
	v_fma_f16 v15, v2, v17, v15
	v_fma_f16 v2, v2, v27, -v16
	v_mul_f16_sdwa v16, v3, v28 dst_sel:DWORD dst_unused:UNUSED_PAD src0_sel:WORD_1 src1_sel:DWORD
	v_mul_f16_sdwa v17, v3, v20 dst_sel:DWORD dst_unused:UNUSED_PAD src0_sel:WORD_1 src1_sel:DWORD
	s_waitcnt lgkmcnt(0)
	v_lshrrev_b32_e32 v30, 16, v19
	v_fma_f16 v16, v3, v20, v16
	v_fma_f16 v3, v3, v28, -v17
	v_mul_f16_sdwa v17, v22, v29 dst_sel:DWORD dst_unused:UNUSED_PAD src0_sel:WORD_1 src1_sel:DWORD
	v_fma_f16 v17, v22, v21, v17
	v_mul_f16_sdwa v20, v22, v21 dst_sel:DWORD dst_unused:UNUSED_PAD src0_sel:WORD_1 src1_sel:DWORD
	v_mul_f16_sdwa v21, v23, v30 dst_sel:DWORD dst_unused:UNUSED_PAD src0_sel:WORD_1 src1_sel:DWORD
	v_fma_f16 v21, v23, v19, v21
	v_mul_f16_sdwa v19, v23, v19 dst_sel:DWORD dst_unused:UNUSED_PAD src0_sel:WORD_1 src1_sel:DWORD
	v_fma_f16 v20, v22, v29, -v20
	v_fma_f16 v19, v23, v30, -v19
	v_add_f16_e32 v22, v31, v21
	v_add_f16_e32 v23, v0, v19
	v_sub_f16_e32 v0, v0, v19
	v_add_f16_e32 v19, v11, v17
	v_add_f16_e32 v26, v1, v20
	v_sub_f16_e32 v21, v31, v21
	v_sub_f16_e32 v11, v11, v17
	;; [unrolled: 1-line block ×3, first 2 shown]
	v_add_f16_e32 v17, v15, v16
	v_add_f16_e32 v20, v2, v3
	v_sub_f16_e32 v15, v16, v15
	v_sub_f16_e32 v2, v3, v2
	v_add_f16_e32 v3, v19, v22
	v_add_f16_e32 v16, v26, v23
	v_sub_f16_e32 v27, v19, v22
	v_sub_f16_e32 v28, v26, v23
	;; [unrolled: 1-line block ×6, first 2 shown]
	v_add_f16_e32 v29, v15, v11
	v_add_f16_e32 v30, v2, v1
	v_sub_f16_e32 v31, v15, v11
	v_sub_f16_e32 v38, v2, v1
	;; [unrolled: 1-line block ×4, first 2 shown]
	v_add_f16_e32 v3, v17, v3
	v_add_f16_e32 v16, v20, v16
	v_sub_f16_e32 v15, v21, v15
	v_sub_f16_e32 v2, v0, v2
	v_add_f16_e32 v17, v29, v21
	v_add_f16_e32 v0, v30, v0
	;; [unrolled: 1-line block ×3, first 2 shown]
	v_add_f16_sdwa v14, v14, v16 dst_sel:DWORD dst_unused:UNUSED_PAD src0_sel:WORD_1 src1_sel:DWORD
	v_mul_f16_e32 v21, 0x3a52, v22
	v_mul_f16_e32 v22, 0x3a52, v23
	;; [unrolled: 1-line block ×6, first 2 shown]
	s_mov_b32 s1, 0xbb00
	v_mul_f16_e32 v38, 0xbb00, v11
	v_mul_f16_e32 v39, 0xbb00, v1
	s_mov_b32 s8, 0xbcab
	s_movk_i32 s9, 0x39e0
	s_mov_b32 s10, 0xb9e0
	s_mov_b32 s11, 0xb574
	s_movk_i32 s12, 0x3574
	v_fma_f16 v3, v3, s8, v20
	v_fma_f16 v16, v16, s8, v14
	;; [unrolled: 1-line block ×4, first 2 shown]
	v_fma_f16 v23, v27, s9, -v23
	v_fma_f16 v29, v28, s9, -v29
	;; [unrolled: 1-line block ×4, first 2 shown]
	v_fma_f16 v27, v15, s11, v30
	v_fma_f16 v28, v2, s11, v31
	v_fma_f16 v11, v11, s1, -v30
	v_fma_f16 v1, v1, s1, -v31
	;; [unrolled: 1-line block ×4, first 2 shown]
	s_mov_b32 s13, 0xb70e
	v_add_f16_e32 v19, v19, v3
	v_add_f16_e32 v26, v26, v16
	v_add_f16_e32 v23, v23, v3
	v_add_f16_e32 v29, v29, v16
	v_add_f16_e32 v3, v21, v3
	v_add_f16_e32 v16, v22, v16
	v_fma_f16 v21, v17, s13, v27
	v_fma_f16 v22, v0, s13, v28
	;; [unrolled: 1-line block ×6, first 2 shown]
	v_add_f16_e32 v2, v22, v19
	v_sub_f16_e32 v17, v26, v21
	v_add_f16_e32 v27, v0, v3
	v_sub_f16_e32 v30, v23, v1
	v_add_f16_e32 v31, v11, v29
	v_add_f16_e32 v1, v1, v23
	v_sub_f16_e32 v11, v29, v11
	v_sub_f16_e32 v0, v3, v0
	v_add_f16_e32 v3, v15, v16
	v_sub_f16_e32 v28, v16, v15
	v_sub_f16_e32 v15, v19, v22
	v_add_f16_e32 v16, v21, v26
	v_pack_b32_f16 v14, v20, v14
	v_pack_b32_f16 v2, v2, v17
	;; [unrolled: 1-line block ×4, first 2 shown]
	s_barrier
	ds_write2_b32 v18, v14, v2 offset1:6
	v_pack_b32_f16 v2, v27, v28
	v_pack_b32_f16 v14, v30, v31
	ds_write2_b32 v18, v1, v0 offset0:24 offset1:30
	v_pack_b32_f16 v0, v15, v16
	ds_write2_b32 v18, v2, v14 offset0:12 offset1:18
	ds_write_b32 v18, v0 offset:144
	s_waitcnt lgkmcnt(0)
	s_barrier
	ds_read2_b32 v[0:1], v13 offset1:42
	ds_read2_b32 v[2:3], v13 offset0:84 offset1:126
	ds_read2_b32 v[16:17], v13 offset0:168 offset1:210
	ds_read_b32 v15, v13 offset:1008
	v_mov_b32_e32 v14, s2
	s_waitcnt lgkmcnt(3)
	v_lshrrev_b32_e32 v11, 16, v1
	v_mul_f16_sdwa v23, v4, v11 dst_sel:DWORD dst_unused:UNUSED_PAD src0_sel:WORD_1 src1_sel:DWORD
	s_waitcnt lgkmcnt(2)
	v_lshrrev_b32_e32 v18, 16, v2
	v_fma_f16 v23, v4, v1, v23
	v_mul_f16_sdwa v1, v4, v1 dst_sel:DWORD dst_unused:UNUSED_PAD src0_sel:WORD_1 src1_sel:DWORD
	v_fma_f16 v1, v4, v11, -v1
	v_mul_f16_sdwa v4, v5, v18 dst_sel:DWORD dst_unused:UNUSED_PAD src0_sel:WORD_1 src1_sel:DWORD
	v_lshrrev_b32_e32 v19, 16, v3
	v_fma_f16 v4, v5, v2, v4
	v_mul_f16_sdwa v2, v5, v2 dst_sel:DWORD dst_unused:UNUSED_PAD src0_sel:WORD_1 src1_sel:DWORD
	v_fma_f16 v2, v5, v18, -v2
	v_mul_f16_sdwa v5, v6, v19 dst_sel:DWORD dst_unused:UNUSED_PAD src0_sel:WORD_1 src1_sel:DWORD
	s_waitcnt lgkmcnt(1)
	v_lshrrev_b32_e32 v20, 16, v16
	v_fma_f16 v5, v6, v3, v5
	v_mul_f16_sdwa v3, v6, v3 dst_sel:DWORD dst_unused:UNUSED_PAD src0_sel:WORD_1 src1_sel:DWORD
	v_lshrrev_b32_e32 v21, 16, v17
	v_fma_f16 v3, v6, v19, -v3
	v_mul_f16_sdwa v6, v7, v20 dst_sel:DWORD dst_unused:UNUSED_PAD src0_sel:WORD_1 src1_sel:DWORD
	v_mul_f16_sdwa v11, v7, v16 dst_sel:DWORD dst_unused:UNUSED_PAD src0_sel:WORD_1 src1_sel:DWORD
	s_waitcnt lgkmcnt(0)
	v_lshrrev_b32_e32 v22, 16, v15
	v_fma_f16 v6, v7, v16, v6
	v_fma_f16 v7, v7, v20, -v11
	v_mul_f16_sdwa v11, v24, v21 dst_sel:DWORD dst_unused:UNUSED_PAD src0_sel:WORD_1 src1_sel:DWORD
	v_fma_f16 v11, v24, v17, v11
	v_mul_f16_sdwa v16, v24, v17 dst_sel:DWORD dst_unused:UNUSED_PAD src0_sel:WORD_1 src1_sel:DWORD
	v_mul_f16_sdwa v17, v25, v22 dst_sel:DWORD dst_unused:UNUSED_PAD src0_sel:WORD_1 src1_sel:DWORD
	v_fma_f16 v17, v25, v15, v17
	v_mul_f16_sdwa v15, v25, v15 dst_sel:DWORD dst_unused:UNUSED_PAD src0_sel:WORD_1 src1_sel:DWORD
	v_fma_f16 v16, v24, v21, -v16
	v_fma_f16 v15, v25, v22, -v15
	v_add_f16_e32 v18, v23, v17
	v_add_f16_e32 v19, v1, v15
	v_sub_f16_e32 v1, v1, v15
	v_add_f16_e32 v15, v4, v11
	v_add_f16_e32 v20, v2, v16
	v_sub_f16_e32 v4, v4, v11
	v_sub_f16_e32 v2, v2, v16
	v_add_f16_e32 v11, v5, v6
	v_add_f16_e32 v16, v3, v7
	v_sub_f16_e32 v5, v6, v5
	;; [unrolled: 4-line block ×3, first 2 shown]
	v_sub_f16_e32 v21, v15, v18
	v_sub_f16_e32 v22, v20, v19
	;; [unrolled: 1-line block ×6, first 2 shown]
	v_add_f16_e32 v23, v5, v4
	v_add_f16_e32 v24, v3, v2
	v_sub_f16_e32 v25, v5, v4
	v_sub_f16_e32 v26, v3, v2
	v_add_f16_e32 v6, v11, v6
	v_add_f16_e32 v7, v16, v7
	v_sub_f16_e32 v5, v17, v5
	v_sub_f16_e32 v3, v1, v3
	;; [unrolled: 1-line block ×4, first 2 shown]
	v_add_f16_e32 v11, v23, v17
	v_add_f16_e32 v1, v24, v1
	;; [unrolled: 1-line block ×3, first 2 shown]
	v_add_f16_sdwa v0, v0, v7 dst_sel:DWORD dst_unused:UNUSED_PAD src0_sel:WORD_1 src1_sel:DWORD
	v_mul_f16_e32 v17, 0x3a52, v18
	v_mul_f16_e32 v18, 0x3a52, v19
	;; [unrolled: 1-line block ×8, first 2 shown]
	v_fma_f16 v6, v6, s8, v16
	v_fma_f16 v7, v7, s8, v0
	;; [unrolled: 1-line block ×4, first 2 shown]
	v_fma_f16 v19, v21, s9, -v19
	v_fma_f16 v23, v22, s9, -v23
	;; [unrolled: 1-line block ×4, first 2 shown]
	v_fma_f16 v21, v5, s11, v24
	v_fma_f16 v22, v3, s11, v25
	v_fma_f16 v4, v4, s1, -v24
	v_fma_f16 v2, v2, s1, -v25
	;; [unrolled: 1-line block ×4, first 2 shown]
	v_add_f16_e32 v15, v15, v6
	v_add_f16_e32 v20, v20, v7
	;; [unrolled: 1-line block ×6, first 2 shown]
	v_fma_f16 v17, v11, s13, v21
	v_fma_f16 v18, v1, s13, v22
	;; [unrolled: 1-line block ×6, first 2 shown]
	v_add_f16_e32 v3, v18, v15
	v_sub_f16_e32 v11, v20, v17
	v_add_f16_e32 v21, v1, v6
	v_sub_f16_e32 v22, v7, v5
	v_sub_f16_e32 v24, v19, v2
	v_add_f16_e32 v25, v4, v23
	v_pack_b32_f16 v0, v16, v0
	v_pack_b32_f16 v3, v3, v11
	v_add_f16_e32 v2, v2, v19
	v_sub_f16_e32 v4, v23, v4
	v_sub_f16_e32 v1, v6, v1
	v_add_f16_e32 v5, v5, v7
	ds_write2_b32 v13, v0, v3 offset1:42
	v_pack_b32_f16 v0, v21, v22
	v_pack_b32_f16 v3, v24, v25
	v_sub_f16_e32 v6, v15, v18
	v_add_f16_e32 v7, v17, v20
	ds_write2_b32 v13, v0, v3 offset0:84 offset1:126
	v_pack_b32_f16 v0, v2, v4
	v_pack_b32_f16 v1, v1, v5
	ds_write2_b32 v13, v0, v1 offset0:168 offset1:210
	v_pack_b32_f16 v0, v6, v7
	ds_write_b32 v13, v0 offset:1008
	s_waitcnt lgkmcnt(0)
	s_barrier
	ds_read2_b32 v[0:1], v13 offset1:49
	v_mad_u64_u32 v[2:3], s[0:1], s6, v12, 0
	v_mov_b32_e32 v4, v3
	v_mad_u64_u32 v[4:5], s[0:1], s7, v12, v[4:5]
	s_waitcnt lgkmcnt(0)
	v_lshrrev_b32_e32 v6, 16, v0
	v_mul_f16_sdwa v3, v37, v6 dst_sel:DWORD dst_unused:UNUSED_PAD src0_sel:WORD_1 src1_sel:DWORD
	v_fma_f16 v3, v37, v0, v3
	v_cvt_f32_f16_e32 v7, v3
	s_mov_b32 s6, 0x899406f7
	v_mov_b32_e32 v3, v4
	s_mov_b32 s7, 0x3f6bdd2b
	v_cvt_f64_f32_e32 v[4:5], v7
	v_mul_f64 v[4:5], v[4:5], s[6:7]
	s_movk_i32 s10, 0x1ff
	v_and_or_b32 v4, v5, s10, v4
	v_cmp_ne_u32_e64 s[0:1], 0, v4
	v_lshrrev_b32_e32 v7, 8, v5
	s_movk_i32 s11, 0xffe
	v_cndmask_b32_e64 v4, 0, 1, s[0:1]
	v_bfe_u32 v11, v5, 20, 11
	v_and_or_b32 v7, v7, s11, v4
	v_sub_u32_e32 v12, 0x3f1, v11
	v_or_b32_e32 v4, 0x1000, v7
	v_med3_i32 v12, v12, 0, 13
	v_lshrrev_b32_e32 v16, v12, v4
	v_lshlrev_b32_e32 v12, v12, v16
	v_cmp_ne_u32_e64 s[0:1], v12, v4
	v_add_u32_e32 v11, 0xfffffc10, v11
	v_lshl_or_b32 v12, v11, 12, v7
	v_cndmask_b32_e64 v4, 0, 1, s[0:1]
	v_or_b32_e32 v4, v16, v4
	v_cmp_gt_i32_e64 s[0:1], 1, v11
	v_mov_b32_e32 v15, s3
	v_mul_f16_sdwa v0, v37, v0 dst_sel:DWORD dst_unused:UNUSED_PAD src0_sel:WORD_1 src1_sel:DWORD
	v_cndmask_b32_e64 v4, v12, v4, s[0:1]
	v_and_b32_e32 v12, 7, v4
	v_cmp_lt_i32_e64 s[0:1], 5, v12
	v_cmp_eq_u32_e64 s[2:3], 3, v12
	v_lshrrev_b32_e32 v4, 2, v4
	s_or_b64 s[0:1], s[2:3], s[0:1]
	v_addc_co_u32_e64 v12, s[0:1], 0, v4, s[0:1]
	v_fma_f16 v0, v37, v6, -v0
	v_mov_b32_e32 v4, 0x7c00
	v_cmp_gt_i32_e64 s[0:1], 31, v11
	v_cvt_f32_f16_e32 v0, v0
	s_movk_i32 s12, 0x40f
	v_cndmask_b32_e64 v12, v4, v12, s[0:1]
	v_cmp_ne_u32_e64 s[0:1], 0, v7
	s_mov_b32 s13, 0x8000
	v_and_b32_sdwa v5, v5, s13 dst_sel:DWORD dst_unused:UNUSED_PAD src0_sel:WORD_1 src1_sel:DWORD
	v_cndmask_b32_e64 v7, 0, 1, s[0:1]
	v_lshl_or_b32 v7, v7, 9, v4
	v_cmp_eq_u32_e64 s[0:1], s12, v11
	v_lshl_add_u64 v[2:3], v[2:3], 2, v[14:15]
	s_nop 0
	v_cndmask_b32_e64 v12, v12, v7, s[0:1]
	v_cvt_f64_f32_e32 v[6:7], v0
	v_mul_f64 v[6:7], v[6:7], s[6:7]
	v_and_or_b32 v0, v7, s10, v6
	v_cmp_ne_u32_e64 s[0:1], 0, v0
	v_lshrrev_b32_e32 v6, 8, v7
	v_bfe_u32 v11, v7, 20, 11
	v_cndmask_b32_e64 v0, 0, 1, s[0:1]
	v_and_or_b32 v0, v6, s11, v0
	v_sub_u32_e32 v16, 0x3f1, v11
	v_or_b32_e32 v6, 0x1000, v0
	v_med3_i32 v16, v16, 0, 13
	v_lshrrev_b32_e32 v17, v16, v6
	v_lshlrev_b32_e32 v16, v16, v17
	v_cmp_ne_u32_e64 s[0:1], v16, v6
	v_add_u32_e32 v11, 0xfffffc10, v11
	v_lshl_or_b32 v16, v11, 12, v0
	v_cndmask_b32_e64 v6, 0, 1, s[0:1]
	v_or_b32_e32 v6, v17, v6
	v_cmp_gt_i32_e64 s[0:1], 1, v11
	s_nop 1
	v_cndmask_b32_e64 v6, v16, v6, s[0:1]
	v_and_b32_e32 v16, 7, v6
	v_cmp_lt_i32_e64 s[0:1], 5, v16
	v_cmp_eq_u32_e64 s[2:3], 3, v16
	v_lshrrev_b32_e32 v6, 2, v6
	s_or_b64 s[0:1], s[2:3], s[0:1]
	v_addc_co_u32_e64 v6, s[0:1], 0, v6, s[0:1]
	v_cmp_gt_i32_e64 s[0:1], 31, v11
	s_nop 1
	v_cndmask_b32_e64 v6, v4, v6, s[0:1]
	v_cmp_ne_u32_e64 s[0:1], 0, v0
	s_nop 1
	v_cndmask_b32_e64 v0, 0, 1, s[0:1]
	v_lshl_or_b32 v0, v0, 9, v4
	v_cmp_eq_u32_e64 s[0:1], s12, v11
	s_nop 1
	v_cndmask_b32_e64 v0, v6, v0, s[0:1]
	v_lshrrev_b32_e32 v6, 16, v7
	v_and_or_b32 v16, v6, s13, v0
	v_mad_u64_u32 v[6:7], s[0:1], s4, v10, 0
	v_mov_b32_e32 v0, v7
	v_mad_u64_u32 v[10:11], s[0:1], s5, v10, v[0:1]
	v_bitop3_b32 v0, v5, s14, v12 bitop3:0xc8
	v_lshrrev_b32_e32 v5, 16, v1
	v_mov_b32_e32 v7, v10
	v_mul_f16_sdwa v10, v36, v5 dst_sel:DWORD dst_unused:UNUSED_PAD src0_sel:WORD_1 src1_sel:DWORD
	v_fma_f16 v10, v36, v1, v10
	v_cvt_f32_f16_e32 v10, v10
	v_lshl_add_u64 v[2:3], v[6:7], 2, v[2:3]
	v_lshl_or_b32 v0, v16, 16, v0
	global_store_dword v[2:3], v0, off
	v_cvt_f64_f32_e32 v[6:7], v10
	v_mul_f64 v[6:7], v[6:7], s[6:7]
	v_and_or_b32 v0, v7, s10, v6
	v_cmp_ne_u32_e64 s[0:1], 0, v0
	v_lshrrev_b32_e32 v6, 8, v7
	v_bfe_u32 v10, v7, 20, 11
	v_cndmask_b32_e64 v0, 0, 1, s[0:1]
	v_and_or_b32 v0, v6, s11, v0
	v_sub_u32_e32 v11, 0x3f1, v10
	v_or_b32_e32 v6, 0x1000, v0
	v_med3_i32 v11, v11, 0, 13
	v_lshrrev_b32_e32 v12, v11, v6
	v_lshlrev_b32_e32 v11, v11, v12
	v_cmp_ne_u32_e64 s[0:1], v11, v6
	v_add_u32_e32 v10, 0xfffffc10, v10
	v_lshl_or_b32 v11, v10, 12, v0
	v_cndmask_b32_e64 v6, 0, 1, s[0:1]
	v_or_b32_e32 v6, v12, v6
	v_cmp_gt_i32_e64 s[0:1], 1, v10
	v_mul_f16_sdwa v1, v36, v1 dst_sel:DWORD dst_unused:UNUSED_PAD src0_sel:WORD_1 src1_sel:DWORD
	v_fma_f16 v1, v36, v5, -v1
	v_cndmask_b32_e64 v6, v11, v6, s[0:1]
	v_and_b32_e32 v11, 7, v6
	v_cmp_lt_i32_e64 s[0:1], 5, v11
	v_cmp_eq_u32_e64 s[2:3], 3, v11
	v_lshrrev_b32_e32 v6, 2, v6
	s_or_b64 s[0:1], s[2:3], s[0:1]
	v_addc_co_u32_e64 v6, s[0:1], 0, v6, s[0:1]
	v_cmp_gt_i32_e64 s[0:1], 31, v10
	v_cvt_f32_f16_e32 v1, v1
	s_nop 0
	v_cndmask_b32_e64 v6, v4, v6, s[0:1]
	v_cmp_ne_u32_e64 s[0:1], 0, v0
	s_nop 1
	v_cndmask_b32_e64 v0, 0, 1, s[0:1]
	v_lshl_or_b32 v0, v0, 9, v4
	v_cmp_eq_u32_e64 s[0:1], s12, v10
	s_nop 1
	v_cndmask_b32_e64 v5, v6, v0, s[0:1]
	v_cvt_f64_f32_e32 v[0:1], v1
	v_mul_f64 v[0:1], v[0:1], s[6:7]
	v_and_or_b32 v0, v1, s10, v0
	v_cmp_ne_u32_e64 s[0:1], 0, v0
	v_and_b32_sdwa v6, v7, s13 dst_sel:DWORD dst_unused:UNUSED_PAD src0_sel:WORD_1 src1_sel:DWORD
	v_lshrrev_b32_e32 v7, 8, v1
	v_cndmask_b32_e64 v0, 0, 1, s[0:1]
	v_bfe_u32 v10, v1, 20, 11
	v_and_or_b32 v0, v7, s11, v0
	v_sub_u32_e32 v11, 0x3f1, v10
	v_or_b32_e32 v7, 0x1000, v0
	v_med3_i32 v11, v11, 0, 13
	v_lshrrev_b32_e32 v12, v11, v7
	v_lshlrev_b32_e32 v11, v11, v12
	v_cmp_ne_u32_e64 s[0:1], v11, v7
	v_add_u32_e32 v10, 0xfffffc10, v10
	v_lshl_or_b32 v11, v10, 12, v0
	v_cndmask_b32_e64 v7, 0, 1, s[0:1]
	v_or_b32_e32 v7, v12, v7
	v_cmp_gt_i32_e64 s[0:1], 1, v10
	v_lshrrev_b32_e32 v1, 16, v1
	v_bitop3_b32 v5, v6, s14, v5 bitop3:0xc8
	v_cndmask_b32_e64 v7, v11, v7, s[0:1]
	v_and_b32_e32 v11, 7, v7
	v_cmp_lt_i32_e64 s[0:1], 5, v11
	v_cmp_eq_u32_e64 s[2:3], 3, v11
	v_lshrrev_b32_e32 v7, 2, v7
	s_or_b64 s[0:1], s[2:3], s[0:1]
	v_addc_co_u32_e64 v7, s[0:1], 0, v7, s[0:1]
	v_cmp_gt_i32_e64 s[0:1], 31, v10
	s_nop 1
	v_cndmask_b32_e64 v7, v4, v7, s[0:1]
	v_cmp_ne_u32_e64 s[0:1], 0, v0
	s_nop 1
	v_cndmask_b32_e64 v0, 0, 1, s[0:1]
	v_lshl_or_b32 v0, v0, 9, v4
	v_cmp_eq_u32_e64 s[0:1], s12, v10
	s_nop 1
	v_cndmask_b32_e64 v0, v7, v0, s[0:1]
	v_and_or_b32 v7, v1, s13, v0
	ds_read2_b32 v[0:1], v13 offset0:98 offset1:147
	s_mul_i32 s0, s5, 49
	s_mul_hi_u32 s1, s4, 49
	s_add_i32 s1, s1, s0
	s_mul_i32 s0, s4, 49
	s_waitcnt lgkmcnt(0)
	v_lshrrev_b32_e32 v10, 16, v0
	v_mul_f16_sdwa v6, v35, v10 dst_sel:DWORD dst_unused:UNUSED_PAD src0_sel:WORD_1 src1_sel:DWORD
	v_fma_f16 v6, v35, v0, v6
	v_cvt_f32_f16_e32 v6, v6
	v_lshl_or_b32 v5, v7, 16, v5
	s_lshl_b64 s[8:9], s[0:1], 2
	v_lshl_add_u64 v[2:3], v[2:3], 0, s[8:9]
	v_cvt_f64_f32_e32 v[6:7], v6
	v_mul_f64 v[6:7], v[6:7], s[6:7]
	global_store_dword v[2:3], v5, off
	v_and_or_b32 v5, v7, s10, v6
	v_cmp_ne_u32_e64 s[0:1], 0, v5
	v_lshrrev_b32_e32 v6, 8, v7
	v_bfe_u32 v11, v7, 20, 11
	v_cndmask_b32_e64 v5, 0, 1, s[0:1]
	v_and_or_b32 v5, v6, s11, v5
	v_sub_u32_e32 v12, 0x3f1, v11
	v_or_b32_e32 v6, 0x1000, v5
	v_med3_i32 v12, v12, 0, 13
	v_lshrrev_b32_e32 v14, v12, v6
	v_lshlrev_b32_e32 v12, v12, v14
	v_cmp_ne_u32_e64 s[0:1], v12, v6
	v_add_u32_e32 v11, 0xfffffc10, v11
	v_lshl_or_b32 v12, v11, 12, v5
	v_cndmask_b32_e64 v6, 0, 1, s[0:1]
	v_or_b32_e32 v6, v14, v6
	v_cmp_gt_i32_e64 s[0:1], 1, v11
	v_mul_f16_sdwa v0, v35, v0 dst_sel:DWORD dst_unused:UNUSED_PAD src0_sel:WORD_1 src1_sel:DWORD
	v_fma_f16 v0, v35, v10, -v0
	v_cndmask_b32_e64 v6, v12, v6, s[0:1]
	v_and_b32_e32 v12, 7, v6
	v_cmp_lt_i32_e64 s[0:1], 5, v12
	v_cmp_eq_u32_e64 s[2:3], 3, v12
	v_lshrrev_b32_e32 v6, 2, v6
	s_or_b64 s[0:1], s[2:3], s[0:1]
	v_addc_co_u32_e64 v6, s[0:1], 0, v6, s[0:1]
	v_cmp_gt_i32_e64 s[0:1], 31, v11
	v_cvt_f32_f16_e32 v0, v0
	v_and_b32_sdwa v10, v7, s13 dst_sel:DWORD dst_unused:UNUSED_PAD src0_sel:WORD_1 src1_sel:DWORD
	v_cndmask_b32_e64 v6, v4, v6, s[0:1]
	v_cmp_ne_u32_e64 s[0:1], 0, v5
	v_lshl_add_u64 v[2:3], v[2:3], 0, s[8:9]
	s_nop 0
	v_cndmask_b32_e64 v5, 0, 1, s[0:1]
	v_lshl_or_b32 v5, v5, 9, v4
	v_cmp_eq_u32_e64 s[0:1], s12, v11
	s_nop 1
	v_cndmask_b32_e64 v5, v6, v5, s[0:1]
	v_cvt_f64_f32_e32 v[6:7], v0
	v_mul_f64 v[6:7], v[6:7], s[6:7]
	v_and_or_b32 v0, v7, s10, v6
	v_cmp_ne_u32_e64 s[0:1], 0, v0
	v_lshrrev_b32_e32 v6, 8, v7
	v_bfe_u32 v11, v7, 20, 11
	v_cndmask_b32_e64 v0, 0, 1, s[0:1]
	v_and_or_b32 v0, v6, s11, v0
	v_sub_u32_e32 v12, 0x3f1, v11
	v_or_b32_e32 v6, 0x1000, v0
	v_med3_i32 v12, v12, 0, 13
	v_lshrrev_b32_e32 v14, v12, v6
	v_lshlrev_b32_e32 v12, v12, v14
	v_cmp_ne_u32_e64 s[0:1], v12, v6
	v_add_u32_e32 v11, 0xfffffc10, v11
	v_lshl_or_b32 v12, v11, 12, v0
	v_cndmask_b32_e64 v6, 0, 1, s[0:1]
	v_or_b32_e32 v6, v14, v6
	v_cmp_gt_i32_e64 s[0:1], 1, v11
	v_bitop3_b32 v5, v10, s14, v5 bitop3:0xc8
	v_lshrrev_b32_e32 v10, 16, v1
	v_cndmask_b32_e64 v6, v12, v6, s[0:1]
	v_and_b32_e32 v12, 7, v6
	v_cmp_lt_i32_e64 s[0:1], 5, v12
	v_cmp_eq_u32_e64 s[2:3], 3, v12
	v_lshrrev_b32_e32 v6, 2, v6
	s_or_b64 s[0:1], s[2:3], s[0:1]
	v_addc_co_u32_e64 v6, s[0:1], 0, v6, s[0:1]
	v_cmp_gt_i32_e64 s[0:1], 31, v11
	s_nop 1
	v_cndmask_b32_e64 v6, v4, v6, s[0:1]
	v_cmp_ne_u32_e64 s[0:1], 0, v0
	s_nop 1
	v_cndmask_b32_e64 v0, 0, 1, s[0:1]
	v_lshl_or_b32 v0, v0, 9, v4
	v_cmp_eq_u32_e64 s[0:1], s12, v11
	s_nop 1
	v_cndmask_b32_e64 v0, v6, v0, s[0:1]
	v_lshrrev_b32_e32 v6, 16, v7
	v_and_or_b32 v0, v6, s13, v0
	v_mul_f16_sdwa v6, v34, v10 dst_sel:DWORD dst_unused:UNUSED_PAD src0_sel:WORD_1 src1_sel:DWORD
	v_fma_f16 v6, v34, v1, v6
	v_cvt_f32_f16_e32 v6, v6
	v_lshl_or_b32 v0, v0, 16, v5
	global_store_dword v[2:3], v0, off
	v_mul_f16_sdwa v1, v34, v1 dst_sel:DWORD dst_unused:UNUSED_PAD src0_sel:WORD_1 src1_sel:DWORD
	v_cvt_f64_f32_e32 v[6:7], v6
	v_mul_f64 v[6:7], v[6:7], s[6:7]
	v_and_or_b32 v0, v7, s10, v6
	v_cmp_ne_u32_e64 s[0:1], 0, v0
	v_lshrrev_b32_e32 v5, 8, v7
	v_bfe_u32 v6, v7, 20, 11
	v_cndmask_b32_e64 v0, 0, 1, s[0:1]
	v_and_or_b32 v0, v5, s11, v0
	v_sub_u32_e32 v11, 0x3f1, v6
	v_or_b32_e32 v5, 0x1000, v0
	v_med3_i32 v11, v11, 0, 13
	v_lshrrev_b32_e32 v12, v11, v5
	v_lshlrev_b32_e32 v11, v11, v12
	v_cmp_ne_u32_e64 s[0:1], v11, v5
	v_add_u32_e32 v6, 0xfffffc10, v6
	v_lshl_or_b32 v11, v6, 12, v0
	v_cndmask_b32_e64 v5, 0, 1, s[0:1]
	v_or_b32_e32 v5, v12, v5
	v_cmp_gt_i32_e64 s[0:1], 1, v6
	v_fma_f16 v1, v34, v10, -v1
	v_cvt_f32_f16_e32 v1, v1
	v_cndmask_b32_e64 v5, v11, v5, s[0:1]
	v_and_b32_e32 v11, 7, v5
	v_cmp_lt_i32_e64 s[0:1], 5, v11
	v_cmp_eq_u32_e64 s[2:3], 3, v11
	v_lshrrev_b32_e32 v5, 2, v5
	s_or_b64 s[0:1], s[2:3], s[0:1]
	v_addc_co_u32_e64 v5, s[0:1], 0, v5, s[0:1]
	v_cmp_gt_i32_e64 s[0:1], 31, v6
	v_and_b32_sdwa v10, v7, s13 dst_sel:DWORD dst_unused:UNUSED_PAD src0_sel:WORD_1 src1_sel:DWORD
	s_nop 0
	v_cndmask_b32_e64 v5, v4, v5, s[0:1]
	v_cmp_ne_u32_e64 s[0:1], 0, v0
	s_nop 1
	v_cndmask_b32_e64 v0, 0, 1, s[0:1]
	v_lshl_or_b32 v0, v0, 9, v4
	v_cmp_eq_u32_e64 s[0:1], s12, v6
	s_nop 1
	v_cndmask_b32_e64 v5, v5, v0, s[0:1]
	v_cvt_f64_f32_e32 v[0:1], v1
	v_mul_f64 v[0:1], v[0:1], s[6:7]
	v_and_or_b32 v0, v1, s10, v0
	v_cmp_ne_u32_e64 s[0:1], 0, v0
	v_lshrrev_b32_e32 v6, 8, v1
	v_bfe_u32 v7, v1, 20, 11
	v_cndmask_b32_e64 v0, 0, 1, s[0:1]
	v_and_or_b32 v0, v6, s11, v0
	v_sub_u32_e32 v11, 0x3f1, v7
	v_or_b32_e32 v6, 0x1000, v0
	v_med3_i32 v11, v11, 0, 13
	v_lshrrev_b32_e32 v12, v11, v6
	v_lshlrev_b32_e32 v11, v11, v12
	v_cmp_ne_u32_e64 s[0:1], v11, v6
	v_add_u32_e32 v11, 0xfffffc10, v7
	v_lshl_or_b32 v7, v11, 12, v0
	v_cndmask_b32_e64 v6, 0, 1, s[0:1]
	v_or_b32_e32 v6, v12, v6
	v_cmp_gt_i32_e64 s[0:1], 1, v11
	v_lshrrev_b32_e32 v1, 16, v1
	s_nop 0
	v_cndmask_b32_e64 v6, v7, v6, s[0:1]
	v_and_b32_e32 v7, 7, v6
	v_cmp_lt_i32_e64 s[0:1], 5, v7
	v_cmp_eq_u32_e64 s[2:3], 3, v7
	v_lshrrev_b32_e32 v6, 2, v6
	s_or_b64 s[0:1], s[2:3], s[0:1]
	v_addc_co_u32_e64 v6, s[0:1], 0, v6, s[0:1]
	v_cmp_gt_i32_e64 s[0:1], 31, v11
	s_nop 1
	v_cndmask_b32_e64 v12, v4, v6, s[0:1]
	ds_read2_b32 v[6:7], v13 offset0:196 offset1:245
	v_cmp_ne_u32_e64 s[0:1], 0, v0
	s_nop 1
	v_cndmask_b32_e64 v0, 0, 1, s[0:1]
	v_lshl_or_b32 v0, v0, 9, v4
	v_cmp_eq_u32_e64 s[0:1], s12, v11
	s_nop 1
	v_cndmask_b32_e64 v0, v12, v0, s[0:1]
	v_and_or_b32 v0, v1, s13, v0
	v_bitop3_b32 v1, v10, s14, v5 bitop3:0xc8
	s_waitcnt lgkmcnt(0)
	v_lshrrev_b32_e32 v5, 16, v6
	v_mul_f16_sdwa v10, v33, v5 dst_sel:DWORD dst_unused:UNUSED_PAD src0_sel:WORD_1 src1_sel:DWORD
	v_fma_f16 v10, v33, v6, v10
	v_cvt_f32_f16_e32 v10, v10
	v_lshl_or_b32 v11, v0, 16, v1
	v_lshl_add_u64 v[0:1], v[2:3], 0, s[8:9]
	global_store_dword v[0:1], v11, off
	v_cvt_f64_f32_e32 v[2:3], v10
	v_mul_f64 v[2:3], v[2:3], s[6:7]
	v_and_or_b32 v2, v3, s10, v2
	v_cmp_ne_u32_e64 s[0:1], 0, v2
	v_lshrrev_b32_e32 v10, 8, v3
	v_bfe_u32 v11, v3, 20, 11
	v_cndmask_b32_e64 v2, 0, 1, s[0:1]
	v_and_or_b32 v2, v10, s11, v2
	v_sub_u32_e32 v12, 0x3f1, v11
	v_or_b32_e32 v10, 0x1000, v2
	v_med3_i32 v12, v12, 0, 13
	v_lshrrev_b32_e32 v14, v12, v10
	v_lshlrev_b32_e32 v12, v12, v14
	v_cmp_ne_u32_e64 s[0:1], v12, v10
	v_add_u32_e32 v11, 0xfffffc10, v11
	v_lshl_or_b32 v12, v11, 12, v2
	v_cndmask_b32_e64 v10, 0, 1, s[0:1]
	v_or_b32_e32 v10, v14, v10
	v_cmp_gt_i32_e64 s[0:1], 1, v11
	v_mul_f16_sdwa v6, v33, v6 dst_sel:DWORD dst_unused:UNUSED_PAD src0_sel:WORD_1 src1_sel:DWORD
	v_fma_f16 v5, v33, v5, -v6
	v_cndmask_b32_e64 v10, v12, v10, s[0:1]
	v_and_b32_e32 v12, 7, v10
	v_cmp_lt_i32_e64 s[0:1], 5, v12
	v_cmp_eq_u32_e64 s[2:3], 3, v12
	v_lshrrev_b32_e32 v10, 2, v10
	s_or_b64 s[0:1], s[2:3], s[0:1]
	v_addc_co_u32_e64 v10, s[0:1], 0, v10, s[0:1]
	v_cmp_gt_i32_e64 s[0:1], 31, v11
	v_cvt_f32_f16_e32 v5, v5
	v_lshl_add_u64 v[0:1], v[0:1], 0, s[8:9]
	v_cndmask_b32_e64 v10, v4, v10, s[0:1]
	v_cmp_ne_u32_e64 s[0:1], 0, v2
	s_nop 1
	v_cndmask_b32_e64 v2, 0, 1, s[0:1]
	v_lshl_or_b32 v2, v2, 9, v4
	v_cmp_eq_u32_e64 s[0:1], s12, v11
	s_nop 1
	v_cndmask_b32_e64 v6, v10, v2, s[0:1]
	v_and_b32_sdwa v10, v3, s13 dst_sel:DWORD dst_unused:UNUSED_PAD src0_sel:WORD_1 src1_sel:DWORD
	v_cvt_f64_f32_e32 v[2:3], v5
	v_mul_f64 v[2:3], v[2:3], s[6:7]
	v_and_or_b32 v2, v3, s10, v2
	v_cmp_ne_u32_e64 s[0:1], 0, v2
	v_lshrrev_b32_e32 v5, 8, v3
	v_bfe_u32 v11, v3, 20, 11
	v_cndmask_b32_e64 v2, 0, 1, s[0:1]
	v_and_or_b32 v2, v5, s11, v2
	v_sub_u32_e32 v12, 0x3f1, v11
	v_or_b32_e32 v5, 0x1000, v2
	v_med3_i32 v12, v12, 0, 13
	v_lshrrev_b32_e32 v14, v12, v5
	v_lshlrev_b32_e32 v12, v12, v14
	v_cmp_ne_u32_e64 s[0:1], v12, v5
	v_add_u32_e32 v11, 0xfffffc10, v11
	v_lshl_or_b32 v12, v11, 12, v2
	v_cndmask_b32_e64 v5, 0, 1, s[0:1]
	v_or_b32_e32 v5, v14, v5
	v_cmp_gt_i32_e64 s[0:1], 1, v11
	v_lshrrev_b32_e32 v3, 16, v3
	s_nop 0
	v_cndmask_b32_e64 v5, v12, v5, s[0:1]
	v_and_b32_e32 v12, 7, v5
	v_cmp_lt_i32_e64 s[0:1], 5, v12
	v_cmp_eq_u32_e64 s[2:3], 3, v12
	v_lshrrev_b32_e32 v5, 2, v5
	s_or_b64 s[0:1], s[2:3], s[0:1]
	v_addc_co_u32_e64 v5, s[0:1], 0, v5, s[0:1]
	v_cmp_gt_i32_e64 s[0:1], 31, v11
	s_nop 1
	v_cndmask_b32_e64 v5, v4, v5, s[0:1]
	v_cmp_ne_u32_e64 s[0:1], 0, v2
	s_nop 1
	v_cndmask_b32_e64 v2, 0, 1, s[0:1]
	v_lshl_or_b32 v2, v2, 9, v4
	v_cmp_eq_u32_e64 s[0:1], s12, v11
	s_nop 1
	v_cndmask_b32_e64 v2, v5, v2, s[0:1]
	v_lshrrev_b32_e32 v5, 16, v7
	v_and_or_b32 v2, v3, s13, v2
	v_bitop3_b32 v3, v10, s14, v6 bitop3:0xc8
	v_mul_f16_sdwa v6, v32, v5 dst_sel:DWORD dst_unused:UNUSED_PAD src0_sel:WORD_1 src1_sel:DWORD
	v_fma_f16 v6, v32, v7, v6
	v_cvt_f32_f16_e32 v6, v6
	v_lshl_or_b32 v2, v2, 16, v3
	global_store_dword v[0:1], v2, off
	v_mul_f16_sdwa v7, v32, v7 dst_sel:DWORD dst_unused:UNUSED_PAD src0_sel:WORD_1 src1_sel:DWORD
	v_cvt_f64_f32_e32 v[2:3], v6
	v_mul_f64 v[2:3], v[2:3], s[6:7]
	v_and_or_b32 v2, v3, s10, v2
	v_cmp_ne_u32_e64 s[0:1], 0, v2
	v_lshrrev_b32_e32 v6, 8, v3
	v_bfe_u32 v10, v3, 20, 11
	v_cndmask_b32_e64 v2, 0, 1, s[0:1]
	v_and_or_b32 v2, v6, s11, v2
	v_sub_u32_e32 v11, 0x3f1, v10
	v_or_b32_e32 v6, 0x1000, v2
	v_med3_i32 v11, v11, 0, 13
	v_lshrrev_b32_e32 v12, v11, v6
	v_lshlrev_b32_e32 v11, v11, v12
	v_cmp_ne_u32_e64 s[0:1], v11, v6
	v_add_u32_e32 v10, 0xfffffc10, v10
	v_lshl_or_b32 v11, v10, 12, v2
	v_cndmask_b32_e64 v6, 0, 1, s[0:1]
	v_or_b32_e32 v6, v12, v6
	v_cmp_gt_i32_e64 s[0:1], 1, v10
	v_fma_f16 v5, v32, v5, -v7
	v_cvt_f32_f16_e32 v5, v5
	v_cndmask_b32_e64 v6, v11, v6, s[0:1]
	v_and_b32_e32 v11, 7, v6
	v_cmp_lt_i32_e64 s[0:1], 5, v11
	v_cmp_eq_u32_e64 s[2:3], 3, v11
	v_lshrrev_b32_e32 v6, 2, v6
	s_or_b64 s[0:1], s[2:3], s[0:1]
	v_addc_co_u32_e64 v6, s[0:1], 0, v6, s[0:1]
	v_cmp_gt_i32_e64 s[0:1], 31, v10
	v_and_b32_sdwa v7, v3, s13 dst_sel:DWORD dst_unused:UNUSED_PAD src0_sel:WORD_1 src1_sel:DWORD
	s_nop 0
	v_cndmask_b32_e64 v6, v4, v6, s[0:1]
	v_cmp_ne_u32_e64 s[0:1], 0, v2
	s_nop 1
	v_cndmask_b32_e64 v2, 0, 1, s[0:1]
	v_lshl_or_b32 v2, v2, 9, v4
	v_cmp_eq_u32_e64 s[0:1], s12, v10
	s_nop 1
	v_cndmask_b32_e64 v6, v6, v2, s[0:1]
	v_cvt_f64_f32_e32 v[2:3], v5
	v_mul_f64 v[2:3], v[2:3], s[6:7]
	v_and_or_b32 v2, v3, s10, v2
	v_cmp_ne_u32_e64 s[0:1], 0, v2
	v_lshrrev_b32_e32 v5, 8, v3
	v_bfe_u32 v10, v3, 20, 11
	v_cndmask_b32_e64 v2, 0, 1, s[0:1]
	v_and_or_b32 v2, v5, s11, v2
	v_sub_u32_e32 v11, 0x3f1, v10
	v_or_b32_e32 v5, 0x1000, v2
	v_med3_i32 v11, v11, 0, 13
	v_lshrrev_b32_e32 v12, v11, v5
	v_lshlrev_b32_e32 v11, v11, v12
	v_cmp_ne_u32_e64 s[0:1], v11, v5
	v_add_u32_e32 v10, 0xfffffc10, v10
	v_lshl_or_b32 v11, v10, 12, v2
	v_cndmask_b32_e64 v5, 0, 1, s[0:1]
	v_or_b32_e32 v5, v12, v5
	v_cmp_gt_i32_e64 s[0:1], 1, v10
	v_lshrrev_b32_e32 v3, 16, v3
	s_nop 0
	v_cndmask_b32_e64 v5, v11, v5, s[0:1]
	v_and_b32_e32 v11, 7, v5
	v_cmp_lt_i32_e64 s[0:1], 5, v11
	v_cmp_eq_u32_e64 s[2:3], 3, v11
	v_lshrrev_b32_e32 v5, 2, v5
	s_or_b64 s[0:1], s[2:3], s[0:1]
	v_addc_co_u32_e64 v5, s[0:1], 0, v5, s[0:1]
	v_cmp_gt_i32_e64 s[0:1], 31, v10
	s_nop 1
	v_cndmask_b32_e64 v5, v4, v5, s[0:1]
	v_cmp_ne_u32_e64 s[0:1], 0, v2
	s_nop 1
	v_cndmask_b32_e64 v2, 0, 1, s[0:1]
	v_lshl_or_b32 v2, v2, 9, v4
	v_cmp_eq_u32_e64 s[0:1], s12, v10
	s_nop 1
	v_cndmask_b32_e64 v2, v5, v2, s[0:1]
	v_and_or_b32 v2, v3, s13, v2
	v_bitop3_b32 v3, v7, s14, v6 bitop3:0xc8
	v_lshl_or_b32 v5, v2, 16, v3
	v_lshl_add_u64 v[2:3], v[0:1], 0, s[8:9]
	global_store_dword v[2:3], v5, off
	s_and_b64 exec, exec, vcc
	s_cbranch_execz .LBB0_15
; %bb.14:
	global_load_dword v5, v[8:9], off offset:168
	global_load_dword v12, v[8:9], off offset:364
	ds_read2_b32 v[0:1], v13 offset0:42 offset1:91
	global_load_dword v14, v[8:9], off offset:560
	global_load_dword v15, v[8:9], off offset:756
	;; [unrolled: 1-line block ×4, first 2 shown]
	v_mov_b32_e32 v6, 0xfffffcd4
	v_mad_u64_u32 v[2:3], s[2:3], s4, v6, v[2:3]
	s_waitcnt lgkmcnt(0)
	v_lshrrev_b32_e32 v6, 16, v0
	v_lshrrev_b32_e32 v18, 16, v1
	s_mul_i32 s0, s5, 0xfffffcd4
	s_sub_i32 s0, s0, s4
	v_add_u32_e32 v3, s0, v3
	s_waitcnt vmcnt(5)
	v_mul_f16_sdwa v7, v6, v5 dst_sel:DWORD dst_unused:UNUSED_PAD src0_sel:DWORD src1_sel:WORD_1
	v_mul_f16_sdwa v8, v0, v5 dst_sel:DWORD dst_unused:UNUSED_PAD src0_sel:DWORD src1_sel:WORD_1
	v_fma_f16 v0, v0, v5, v7
	v_fma_f16 v5, v5, v6, -v8
	v_cvt_f32_f16_e32 v0, v0
	s_waitcnt vmcnt(4)
	v_mul_f16_sdwa v9, v18, v12 dst_sel:DWORD dst_unused:UNUSED_PAD src0_sel:DWORD src1_sel:WORD_1
	v_cvt_f32_f16_e32 v5, v5
	v_fma_f16 v6, v1, v12, v9
	v_cvt_f32_f16_e32 v10, v6
	v_cvt_f64_f32_e32 v[6:7], v0
	v_cvt_f64_f32_e32 v[8:9], v5
	v_mul_f64 v[6:7], v[6:7], s[6:7]
	v_mul_f64 v[8:9], v[8:9], s[6:7]
	v_and_or_b32 v0, v7, s10, v6
	v_cvt_f64_f32_e32 v[10:11], v10
	v_and_or_b32 v8, v9, s10, v8
	v_cmp_ne_u32_e32 vcc, 0, v0
	v_mul_f64 v[10:11], v[10:11], s[6:7]
	v_lshrrev_b32_e32 v5, 8, v7
	v_bfe_u32 v6, v7, 20, 11
	v_cndmask_b32_e64 v0, 0, 1, vcc
	v_cmp_ne_u32_e32 vcc, 0, v8
	v_lshrrev_b32_e32 v19, 8, v9
	v_bfe_u32 v20, v9, 20, 11
	v_and_or_b32 v10, v11, s10, v10
	v_sub_u32_e32 v22, 0x3f1, v6
	v_cndmask_b32_e64 v8, 0, 1, vcc
	v_and_or_b32 v0, v5, s11, v0
	v_sub_u32_e32 v23, 0x3f1, v20
	v_cmp_ne_u32_e32 vcc, 0, v10
	v_med3_i32 v5, v22, 0, 13
	v_and_or_b32 v8, v19, s11, v8
	v_or_b32_e32 v22, 0x1000, v0
	v_add_u32_e32 v6, 0xfffffc10, v6
	v_cndmask_b32_e64 v10, 0, 1, vcc
	v_med3_i32 v19, v23, 0, 13
	v_cmp_ne_u32_e32 vcc, 0, v0
	v_or_b32_e32 v24, 0x1000, v8
	v_lshrrev_b32_e32 v26, v5, v22
	v_add_u32_e32 v20, 0xfffffc10, v20
	v_lshl_or_b32 v23, v6, 12, v0
	v_cndmask_b32_e64 v0, 0, 1, vcc
	v_cmp_ne_u32_e32 vcc, 0, v8
	v_lshrrev_b32_e32 v27, v19, v24
	v_lshlrev_b32_e32 v5, v5, v26
	v_lshl_or_b32 v25, v20, 12, v8
	v_cndmask_b32_e64 v8, 0, 1, vcc
	v_lshlrev_b32_e32 v19, v19, v27
	v_cmp_ne_u32_e32 vcc, v5, v22
	v_lshl_or_b32 v0, v0, 9, v4
	v_lshl_or_b32 v8, v8, 9, v4
	v_cndmask_b32_e64 v5, 0, 1, vcc
	v_cmp_ne_u32_e32 vcc, v19, v24
	v_or_b32_e32 v5, v26, v5
	v_and_b32_sdwa v7, v7, s13 dst_sel:DWORD dst_unused:UNUSED_PAD src0_sel:WORD_1 src1_sel:DWORD
	v_cndmask_b32_e64 v19, 0, 1, vcc
	v_cmp_gt_i32_e32 vcc, 1, v6
	v_or_b32_e32 v19, v27, v19
	v_lshrrev_b32_e32 v9, 16, v9
	v_cndmask_b32_e32 v5, v23, v5, vcc
	v_cmp_gt_i32_e32 vcc, 1, v20
	v_and_b32_e32 v22, 7, v5
	v_cmp_eq_u32_e64 s[0:1], 3, v22
	v_cndmask_b32_e32 v19, v25, v19, vcc
	v_cmp_lt_i32_e32 vcc, 5, v22
	v_lshrrev_b32_e32 v5, 2, v5
	v_and_b32_e32 v23, 7, v19
	s_or_b64 vcc, s[0:1], vcc
	v_cmp_lt_i32_e64 s[2:3], 5, v23
	v_cmp_eq_u32_e64 s[4:5], 3, v23
	v_addc_co_u32_e32 v5, vcc, 0, v5, vcc
	v_lshrrev_b32_e32 v19, 2, v19
	s_or_b64 vcc, s[4:5], s[2:3]
	v_addc_co_u32_e32 v19, vcc, 0, v19, vcc
	v_cmp_gt_i32_e32 vcc, 31, v6
	v_lshrrev_b32_e32 v21, 8, v11
	v_mul_f16_sdwa v1, v1, v12 dst_sel:DWORD dst_unused:UNUSED_PAD src0_sel:DWORD src1_sel:WORD_1
	v_cndmask_b32_e32 v5, v4, v5, vcc
	v_cmp_gt_i32_e32 vcc, 31, v20
	v_fma_f16 v1, v12, v18, -v1
	v_cvt_f32_f16_e32 v1, v1
	v_cndmask_b32_e32 v19, v4, v19, vcc
	v_cmp_eq_u32_e32 vcc, s12, v6
	v_bfe_u32 v6, v11, 20, 11
	s_nop 0
	v_cndmask_b32_e32 v0, v5, v0, vcc
	v_cmp_eq_u32_e32 vcc, s12, v20
	v_bitop3_b32 v0, v7, s14, v0 bitop3:0xc8
	v_sub_u32_e32 v7, 0x3f1, v6
	v_cndmask_b32_e32 v5, v19, v8, vcc
	v_and_or_b32 v5, v9, s13, v5
	v_lshl_or_b32 v0, v5, 16, v0
	global_store_dword v[2:3], v0, off
	v_and_or_b32 v0, v21, s11, v10
	v_or_b32_e32 v5, 0x1000, v0
	v_med3_i32 v7, v7, 0, 13
	v_lshrrev_b32_e32 v8, v7, v5
	v_lshlrev_b32_e32 v7, v7, v8
	v_cmp_ne_u32_e32 vcc, v7, v5
	v_add_u32_e32 v6, 0xfffffc10, v6
	v_lshl_or_b32 v7, v6, 12, v0
	v_cndmask_b32_e64 v5, 0, 1, vcc
	v_or_b32_e32 v5, v8, v5
	v_cmp_gt_i32_e32 vcc, 1, v6
	v_and_b32_sdwa v8, v11, s13 dst_sel:DWORD dst_unused:UNUSED_PAD src0_sel:WORD_1 src1_sel:DWORD
	s_nop 0
	v_cndmask_b32_e32 v5, v7, v5, vcc
	v_and_b32_e32 v7, 7, v5
	v_cmp_lt_i32_e32 vcc, 5, v7
	v_cmp_eq_u32_e64 s[0:1], 3, v7
	v_lshrrev_b32_e32 v5, 2, v5
	s_or_b64 vcc, s[0:1], vcc
	v_addc_co_u32_e32 v5, vcc, 0, v5, vcc
	v_cmp_gt_i32_e32 vcc, 31, v6
	s_nop 1
	v_cndmask_b32_e32 v5, v4, v5, vcc
	v_cmp_ne_u32_e32 vcc, 0, v0
	s_nop 1
	v_cndmask_b32_e64 v0, 0, 1, vcc
	v_lshl_or_b32 v0, v0, 9, v4
	v_cmp_eq_u32_e32 vcc, s12, v6
	s_nop 1
	v_cndmask_b32_e32 v5, v5, v0, vcc
	v_cvt_f64_f32_e32 v[0:1], v1
	v_mul_f64 v[0:1], v[0:1], s[6:7]
	v_and_or_b32 v0, v1, s10, v0
	v_cmp_ne_u32_e32 vcc, 0, v0
	v_lshrrev_b32_e32 v6, 8, v1
	v_bfe_u32 v7, v1, 20, 11
	v_cndmask_b32_e64 v0, 0, 1, vcc
	v_and_or_b32 v0, v6, s11, v0
	v_sub_u32_e32 v9, 0x3f1, v7
	v_or_b32_e32 v6, 0x1000, v0
	v_med3_i32 v9, v9, 0, 13
	v_lshrrev_b32_e32 v10, v9, v6
	v_lshlrev_b32_e32 v9, v9, v10
	v_cmp_ne_u32_e32 vcc, v9, v6
	v_add_u32_e32 v9, 0xfffffc10, v7
	v_lshl_or_b32 v7, v9, 12, v0
	v_cndmask_b32_e64 v6, 0, 1, vcc
	v_or_b32_e32 v6, v10, v6
	v_cmp_gt_i32_e32 vcc, 1, v9
	v_lshrrev_b32_e32 v1, 16, v1
	s_nop 0
	v_cndmask_b32_e32 v6, v7, v6, vcc
	v_and_b32_e32 v7, 7, v6
	v_cmp_lt_i32_e32 vcc, 5, v7
	v_cmp_eq_u32_e64 s[0:1], 3, v7
	v_lshrrev_b32_e32 v6, 2, v6
	s_or_b64 vcc, s[0:1], vcc
	v_addc_co_u32_e32 v6, vcc, 0, v6, vcc
	v_cmp_gt_i32_e32 vcc, 31, v9
	s_nop 1
	v_cndmask_b32_e32 v10, v4, v6, vcc
	ds_read2_b32 v[6:7], v13 offset0:140 offset1:189
	v_cmp_ne_u32_e32 vcc, 0, v0
	s_nop 1
	v_cndmask_b32_e64 v0, 0, 1, vcc
	v_lshl_or_b32 v0, v0, 9, v4
	v_cmp_eq_u32_e32 vcc, s12, v9
	s_nop 1
	v_cndmask_b32_e32 v0, v10, v0, vcc
	v_and_or_b32 v0, v1, s13, v0
	v_bitop3_b32 v1, v8, s14, v5 bitop3:0xc8
	s_waitcnt lgkmcnt(0)
	v_lshrrev_b32_e32 v5, 16, v6
	s_waitcnt vmcnt(4)
	v_mul_f16_sdwa v8, v5, v14 dst_sel:DWORD dst_unused:UNUSED_PAD src0_sel:DWORD src1_sel:WORD_1
	v_fma_f16 v8, v6, v14, v8
	v_cvt_f32_f16_e32 v8, v8
	v_lshl_or_b32 v9, v0, 16, v1
	v_lshl_add_u64 v[0:1], v[2:3], 0, s[8:9]
	global_store_dword v[0:1], v9, off
	v_cvt_f64_f32_e32 v[2:3], v8
	v_mul_f64 v[2:3], v[2:3], s[6:7]
	v_and_or_b32 v2, v3, s10, v2
	v_cmp_ne_u32_e32 vcc, 0, v2
	v_lshrrev_b32_e32 v8, 8, v3
	v_bfe_u32 v9, v3, 20, 11
	v_cndmask_b32_e64 v2, 0, 1, vcc
	v_and_or_b32 v2, v8, s11, v2
	v_sub_u32_e32 v10, 0x3f1, v9
	v_or_b32_e32 v8, 0x1000, v2
	v_med3_i32 v10, v10, 0, 13
	v_lshrrev_b32_e32 v11, v10, v8
	v_lshlrev_b32_e32 v10, v10, v11
	v_cmp_ne_u32_e32 vcc, v10, v8
	v_add_u32_e32 v9, 0xfffffc10, v9
	v_lshl_or_b32 v10, v9, 12, v2
	v_cndmask_b32_e64 v8, 0, 1, vcc
	v_or_b32_e32 v8, v11, v8
	v_cmp_gt_i32_e32 vcc, 1, v9
	v_mul_f16_sdwa v6, v6, v14 dst_sel:DWORD dst_unused:UNUSED_PAD src0_sel:DWORD src1_sel:WORD_1
	v_fma_f16 v5, v14, v5, -v6
	v_cndmask_b32_e32 v8, v10, v8, vcc
	v_and_b32_e32 v10, 7, v8
	v_cmp_lt_i32_e32 vcc, 5, v10
	v_cmp_eq_u32_e64 s[0:1], 3, v10
	v_lshrrev_b32_e32 v8, 2, v8
	s_or_b64 vcc, s[0:1], vcc
	v_addc_co_u32_e32 v8, vcc, 0, v8, vcc
	v_cmp_gt_i32_e32 vcc, 31, v9
	v_cvt_f32_f16_e32 v5, v5
	v_lshl_add_u64 v[0:1], v[0:1], 0, s[8:9]
	v_cndmask_b32_e32 v8, v4, v8, vcc
	v_cmp_ne_u32_e32 vcc, 0, v2
	s_nop 1
	v_cndmask_b32_e64 v2, 0, 1, vcc
	v_lshl_or_b32 v2, v2, 9, v4
	v_cmp_eq_u32_e32 vcc, s12, v9
	s_nop 1
	v_cndmask_b32_e32 v6, v8, v2, vcc
	v_and_b32_sdwa v8, v3, s13 dst_sel:DWORD dst_unused:UNUSED_PAD src0_sel:WORD_1 src1_sel:DWORD
	v_cvt_f64_f32_e32 v[2:3], v5
	v_mul_f64 v[2:3], v[2:3], s[6:7]
	v_and_or_b32 v2, v3, s10, v2
	v_cmp_ne_u32_e32 vcc, 0, v2
	v_lshrrev_b32_e32 v5, 8, v3
	v_bfe_u32 v9, v3, 20, 11
	v_cndmask_b32_e64 v2, 0, 1, vcc
	v_and_or_b32 v2, v5, s11, v2
	v_sub_u32_e32 v10, 0x3f1, v9
	v_or_b32_e32 v5, 0x1000, v2
	v_med3_i32 v10, v10, 0, 13
	v_lshrrev_b32_e32 v11, v10, v5
	v_lshlrev_b32_e32 v10, v10, v11
	v_cmp_ne_u32_e32 vcc, v10, v5
	v_add_u32_e32 v9, 0xfffffc10, v9
	v_lshl_or_b32 v10, v9, 12, v2
	v_cndmask_b32_e64 v5, 0, 1, vcc
	v_or_b32_e32 v5, v11, v5
	v_cmp_gt_i32_e32 vcc, 1, v9
	v_lshrrev_b32_e32 v3, 16, v3
	s_nop 0
	v_cndmask_b32_e32 v5, v10, v5, vcc
	v_and_b32_e32 v10, 7, v5
	v_cmp_lt_i32_e32 vcc, 5, v10
	v_cmp_eq_u32_e64 s[0:1], 3, v10
	v_lshrrev_b32_e32 v5, 2, v5
	s_or_b64 vcc, s[0:1], vcc
	v_addc_co_u32_e32 v5, vcc, 0, v5, vcc
	v_cmp_gt_i32_e32 vcc, 31, v9
	s_nop 1
	v_cndmask_b32_e32 v5, v4, v5, vcc
	v_cmp_ne_u32_e32 vcc, 0, v2
	s_nop 1
	v_cndmask_b32_e64 v2, 0, 1, vcc
	v_lshl_or_b32 v2, v2, 9, v4
	v_cmp_eq_u32_e32 vcc, s12, v9
	s_nop 1
	v_cndmask_b32_e32 v2, v5, v2, vcc
	v_lshrrev_b32_e32 v5, 16, v7
	v_and_or_b32 v2, v3, s13, v2
	v_bitop3_b32 v3, v8, s14, v6 bitop3:0xc8
	s_waitcnt vmcnt(4)
	v_mul_f16_sdwa v6, v5, v15 dst_sel:DWORD dst_unused:UNUSED_PAD src0_sel:DWORD src1_sel:WORD_1
	v_fma_f16 v6, v7, v15, v6
	v_cvt_f32_f16_e32 v6, v6
	v_lshl_or_b32 v2, v2, 16, v3
	global_store_dword v[0:1], v2, off
	v_mul_f16_sdwa v7, v7, v15 dst_sel:DWORD dst_unused:UNUSED_PAD src0_sel:DWORD src1_sel:WORD_1
	v_cvt_f64_f32_e32 v[2:3], v6
	v_mul_f64 v[2:3], v[2:3], s[6:7]
	v_and_or_b32 v2, v3, s10, v2
	v_cmp_ne_u32_e32 vcc, 0, v2
	v_lshrrev_b32_e32 v6, 8, v3
	v_bfe_u32 v8, v3, 20, 11
	v_cndmask_b32_e64 v2, 0, 1, vcc
	v_and_or_b32 v2, v6, s11, v2
	v_sub_u32_e32 v9, 0x3f1, v8
	v_or_b32_e32 v6, 0x1000, v2
	v_med3_i32 v9, v9, 0, 13
	v_lshrrev_b32_e32 v10, v9, v6
	v_lshlrev_b32_e32 v9, v9, v10
	v_cmp_ne_u32_e32 vcc, v9, v6
	v_add_u32_e32 v8, 0xfffffc10, v8
	v_lshl_or_b32 v9, v8, 12, v2
	v_cndmask_b32_e64 v6, 0, 1, vcc
	v_or_b32_e32 v6, v10, v6
	v_cmp_gt_i32_e32 vcc, 1, v8
	v_fma_f16 v5, v15, v5, -v7
	v_cvt_f32_f16_e32 v5, v5
	v_cndmask_b32_e32 v6, v9, v6, vcc
	v_and_b32_e32 v9, 7, v6
	v_cmp_lt_i32_e32 vcc, 5, v9
	v_cmp_eq_u32_e64 s[0:1], 3, v9
	v_lshrrev_b32_e32 v6, 2, v6
	s_or_b64 vcc, s[0:1], vcc
	v_addc_co_u32_e32 v6, vcc, 0, v6, vcc
	v_cmp_gt_i32_e32 vcc, 31, v8
	v_and_b32_sdwa v9, v3, s13 dst_sel:DWORD dst_unused:UNUSED_PAD src0_sel:WORD_1 src1_sel:DWORD
	v_lshl_add_u64 v[0:1], v[0:1], 0, s[8:9]
	v_cndmask_b32_e32 v6, v4, v6, vcc
	v_cmp_ne_u32_e32 vcc, 0, v2
	s_nop 1
	v_cndmask_b32_e64 v2, 0, 1, vcc
	v_lshl_or_b32 v2, v2, 9, v4
	v_cmp_eq_u32_e32 vcc, s12, v8
	s_nop 1
	v_cndmask_b32_e32 v8, v6, v2, vcc
	v_cvt_f64_f32_e32 v[2:3], v5
	v_mul_f64 v[2:3], v[2:3], s[6:7]
	v_and_or_b32 v2, v3, s10, v2
	v_cmp_ne_u32_e32 vcc, 0, v2
	v_lshrrev_b32_e32 v5, 8, v3
	v_bfe_u32 v6, v3, 20, 11
	v_cndmask_b32_e64 v2, 0, 1, vcc
	v_and_or_b32 v2, v5, s11, v2
	v_sub_u32_e32 v7, 0x3f1, v6
	v_or_b32_e32 v5, 0x1000, v2
	v_med3_i32 v7, v7, 0, 13
	v_lshrrev_b32_e32 v10, v7, v5
	v_lshlrev_b32_e32 v7, v7, v10
	v_cmp_ne_u32_e32 vcc, v7, v5
	v_lshrrev_b32_e32 v3, 16, v3
	s_nop 0
	v_cndmask_b32_e64 v5, 0, 1, vcc
	v_or_b32_e32 v5, v10, v5
	v_add_u32_e32 v10, 0xfffffc10, v6
	v_lshl_or_b32 v6, v10, 12, v2
	v_cmp_gt_i32_e32 vcc, 1, v10
	s_nop 1
	v_cndmask_b32_e32 v5, v6, v5, vcc
	v_and_b32_e32 v6, 7, v5
	v_cmp_lt_i32_e32 vcc, 5, v6
	v_cmp_eq_u32_e64 s[0:1], 3, v6
	v_lshrrev_b32_e32 v5, 2, v5
	s_or_b64 vcc, s[0:1], vcc
	v_add_u32_e32 v6, 0x200, v13
	v_addc_co_u32_e32 v5, vcc, 0, v5, vcc
	ds_read2_b32 v[6:7], v6 offset0:110 offset1:159
	v_cmp_gt_i32_e32 vcc, 31, v10
	s_nop 1
	v_cndmask_b32_e32 v5, v4, v5, vcc
	v_cmp_ne_u32_e32 vcc, 0, v2
	s_nop 1
	v_cndmask_b32_e64 v2, 0, 1, vcc
	v_lshl_or_b32 v2, v2, 9, v4
	v_cmp_eq_u32_e32 vcc, s12, v10
	s_nop 1
	v_cndmask_b32_e32 v2, v5, v2, vcc
	s_waitcnt lgkmcnt(0)
	v_lshrrev_b32_e32 v5, 16, v6
	v_and_or_b32 v2, v3, s13, v2
	v_bitop3_b32 v3, v9, s14, v8 bitop3:0xc8
	s_waitcnt vmcnt(4)
	v_mul_f16_sdwa v8, v5, v16 dst_sel:DWORD dst_unused:UNUSED_PAD src0_sel:DWORD src1_sel:WORD_1
	v_fma_f16 v8, v6, v16, v8
	v_cvt_f32_f16_e32 v8, v8
	v_lshl_or_b32 v2, v2, 16, v3
	global_store_dword v[0:1], v2, off
	v_mul_f16_sdwa v6, v6, v16 dst_sel:DWORD dst_unused:UNUSED_PAD src0_sel:DWORD src1_sel:WORD_1
	v_cvt_f64_f32_e32 v[2:3], v8
	v_mul_f64 v[2:3], v[2:3], s[6:7]
	v_and_or_b32 v2, v3, s10, v2
	v_cmp_ne_u32_e32 vcc, 0, v2
	v_lshrrev_b32_e32 v8, 8, v3
	v_bfe_u32 v9, v3, 20, 11
	v_cndmask_b32_e64 v2, 0, 1, vcc
	v_and_or_b32 v2, v8, s11, v2
	v_sub_u32_e32 v10, 0x3f1, v9
	v_or_b32_e32 v8, 0x1000, v2
	v_med3_i32 v10, v10, 0, 13
	v_lshrrev_b32_e32 v11, v10, v8
	v_lshlrev_b32_e32 v10, v10, v11
	v_cmp_ne_u32_e32 vcc, v10, v8
	v_add_u32_e32 v9, 0xfffffc10, v9
	v_lshl_or_b32 v10, v9, 12, v2
	v_cndmask_b32_e64 v8, 0, 1, vcc
	v_or_b32_e32 v8, v11, v8
	v_cmp_gt_i32_e32 vcc, 1, v9
	v_fma_f16 v5, v16, v5, -v6
	v_cvt_f32_f16_e32 v5, v5
	v_cndmask_b32_e32 v8, v10, v8, vcc
	v_and_b32_e32 v10, 7, v8
	v_cmp_lt_i32_e32 vcc, 5, v10
	v_cmp_eq_u32_e64 s[0:1], 3, v10
	v_lshrrev_b32_e32 v8, 2, v8
	s_or_b64 vcc, s[0:1], vcc
	v_addc_co_u32_e32 v8, vcc, 0, v8, vcc
	v_cmp_gt_i32_e32 vcc, 31, v9
	v_lshl_add_u64 v[0:1], v[0:1], 0, s[8:9]
	s_nop 0
	v_cndmask_b32_e32 v8, v4, v8, vcc
	v_cmp_ne_u32_e32 vcc, 0, v2
	s_nop 1
	v_cndmask_b32_e64 v2, 0, 1, vcc
	v_lshl_or_b32 v2, v2, 9, v4
	v_cmp_eq_u32_e32 vcc, s12, v9
	s_nop 1
	v_cndmask_b32_e32 v6, v8, v2, vcc
	v_and_b32_sdwa v8, v3, s13 dst_sel:DWORD dst_unused:UNUSED_PAD src0_sel:WORD_1 src1_sel:DWORD
	v_cvt_f64_f32_e32 v[2:3], v5
	v_mul_f64 v[2:3], v[2:3], s[6:7]
	v_and_or_b32 v2, v3, s10, v2
	v_cmp_ne_u32_e32 vcc, 0, v2
	v_lshrrev_b32_e32 v5, 8, v3
	v_bfe_u32 v9, v3, 20, 11
	v_cndmask_b32_e64 v2, 0, 1, vcc
	v_and_or_b32 v2, v5, s11, v2
	v_sub_u32_e32 v10, 0x3f1, v9
	v_or_b32_e32 v5, 0x1000, v2
	v_med3_i32 v10, v10, 0, 13
	v_lshrrev_b32_e32 v11, v10, v5
	v_lshlrev_b32_e32 v10, v10, v11
	v_cmp_ne_u32_e32 vcc, v10, v5
	v_add_u32_e32 v9, 0xfffffc10, v9
	v_lshl_or_b32 v10, v9, 12, v2
	v_cndmask_b32_e64 v5, 0, 1, vcc
	v_or_b32_e32 v5, v11, v5
	v_cmp_gt_i32_e32 vcc, 1, v9
	v_lshrrev_b32_e32 v3, 16, v3
	s_nop 0
	v_cndmask_b32_e32 v5, v10, v5, vcc
	v_and_b32_e32 v10, 7, v5
	v_cmp_lt_i32_e32 vcc, 5, v10
	v_cmp_eq_u32_e64 s[0:1], 3, v10
	v_lshrrev_b32_e32 v5, 2, v5
	s_or_b64 vcc, s[0:1], vcc
	v_addc_co_u32_e32 v5, vcc, 0, v5, vcc
	v_cmp_gt_i32_e32 vcc, 31, v9
	s_nop 1
	v_cndmask_b32_e32 v5, v4, v5, vcc
	v_cmp_ne_u32_e32 vcc, 0, v2
	s_nop 1
	v_cndmask_b32_e64 v2, 0, 1, vcc
	v_lshl_or_b32 v2, v2, 9, v4
	v_cmp_eq_u32_e32 vcc, s12, v9
	s_nop 1
	v_cndmask_b32_e32 v2, v5, v2, vcc
	v_lshrrev_b32_e32 v5, 16, v7
	v_and_or_b32 v2, v3, s13, v2
	v_bitop3_b32 v3, v8, s14, v6 bitop3:0xc8
	s_waitcnt vmcnt(4)
	v_mul_f16_sdwa v6, v5, v17 dst_sel:DWORD dst_unused:UNUSED_PAD src0_sel:DWORD src1_sel:WORD_1
	v_fma_f16 v6, v7, v17, v6
	v_cvt_f32_f16_e32 v6, v6
	v_lshl_or_b32 v2, v2, 16, v3
	global_store_dword v[0:1], v2, off
	v_mul_f16_sdwa v7, v7, v17 dst_sel:DWORD dst_unused:UNUSED_PAD src0_sel:DWORD src1_sel:WORD_1
	v_cvt_f64_f32_e32 v[2:3], v6
	v_mul_f64 v[2:3], v[2:3], s[6:7]
	v_and_or_b32 v2, v3, s10, v2
	v_cmp_ne_u32_e32 vcc, 0, v2
	v_lshrrev_b32_e32 v6, 8, v3
	v_bfe_u32 v8, v3, 20, 11
	v_cndmask_b32_e64 v2, 0, 1, vcc
	v_and_or_b32 v2, v6, s11, v2
	v_sub_u32_e32 v9, 0x3f1, v8
	v_or_b32_e32 v6, 0x1000, v2
	v_med3_i32 v9, v9, 0, 13
	v_lshrrev_b32_e32 v10, v9, v6
	v_lshlrev_b32_e32 v9, v9, v10
	v_cmp_ne_u32_e32 vcc, v9, v6
	v_add_u32_e32 v8, 0xfffffc10, v8
	v_lshl_or_b32 v9, v8, 12, v2
	v_cndmask_b32_e64 v6, 0, 1, vcc
	v_or_b32_e32 v6, v10, v6
	v_cmp_gt_i32_e32 vcc, 1, v8
	v_fma_f16 v5, v17, v5, -v7
	v_cvt_f32_f16_e32 v5, v5
	v_cndmask_b32_e32 v6, v9, v6, vcc
	v_and_b32_e32 v9, 7, v6
	v_cmp_lt_i32_e32 vcc, 5, v9
	v_cmp_eq_u32_e64 s[0:1], 3, v9
	v_lshrrev_b32_e32 v6, 2, v6
	s_or_b64 vcc, s[0:1], vcc
	v_addc_co_u32_e32 v6, vcc, 0, v6, vcc
	v_cmp_gt_i32_e32 vcc, 31, v8
	v_and_b32_sdwa v7, v3, s13 dst_sel:DWORD dst_unused:UNUSED_PAD src0_sel:WORD_1 src1_sel:DWORD
	v_lshl_add_u64 v[0:1], v[0:1], 0, s[8:9]
	v_cndmask_b32_e32 v6, v4, v6, vcc
	v_cmp_ne_u32_e32 vcc, 0, v2
	s_nop 1
	v_cndmask_b32_e64 v2, 0, 1, vcc
	v_lshl_or_b32 v2, v2, 9, v4
	v_cmp_eq_u32_e32 vcc, s12, v8
	s_nop 1
	v_cndmask_b32_e32 v6, v6, v2, vcc
	v_cvt_f64_f32_e32 v[2:3], v5
	v_mul_f64 v[2:3], v[2:3], s[6:7]
	v_and_or_b32 v2, v3, s10, v2
	v_cmp_ne_u32_e32 vcc, 0, v2
	v_lshrrev_b32_e32 v5, 8, v3
	v_bfe_u32 v8, v3, 20, 11
	v_cndmask_b32_e64 v2, 0, 1, vcc
	v_and_or_b32 v2, v5, s11, v2
	v_sub_u32_e32 v9, 0x3f1, v8
	v_or_b32_e32 v5, 0x1000, v2
	v_med3_i32 v9, v9, 0, 13
	v_lshrrev_b32_e32 v10, v9, v5
	v_lshlrev_b32_e32 v9, v9, v10
	v_cmp_ne_u32_e32 vcc, v9, v5
	v_add_u32_e32 v8, 0xfffffc10, v8
	v_lshl_or_b32 v9, v8, 12, v2
	v_cndmask_b32_e64 v5, 0, 1, vcc
	v_or_b32_e32 v5, v10, v5
	v_cmp_gt_i32_e32 vcc, 1, v8
	v_lshrrev_b32_e32 v3, 16, v3
	s_nop 0
	v_cndmask_b32_e32 v5, v9, v5, vcc
	v_and_b32_e32 v9, 7, v5
	v_cmp_lt_i32_e32 vcc, 5, v9
	v_cmp_eq_u32_e64 s[0:1], 3, v9
	v_lshrrev_b32_e32 v5, 2, v5
	s_or_b64 vcc, s[0:1], vcc
	v_addc_co_u32_e32 v5, vcc, 0, v5, vcc
	v_cmp_gt_i32_e32 vcc, 31, v8
	s_nop 1
	v_cndmask_b32_e32 v5, v4, v5, vcc
	v_cmp_ne_u32_e32 vcc, 0, v2
	s_nop 1
	v_cndmask_b32_e64 v2, 0, 1, vcc
	v_lshl_or_b32 v2, v2, 9, v4
	v_cmp_eq_u32_e32 vcc, s12, v8
	s_nop 1
	v_cndmask_b32_e32 v2, v5, v2, vcc
	v_and_or_b32 v2, v3, s13, v2
	v_bitop3_b32 v3, v7, s14, v6 bitop3:0xc8
	v_lshl_or_b32 v2, v2, 16, v3
	global_store_dword v[0:1], v2, off
.LBB0_15:
	s_endpgm
	.section	.rodata,"a",@progbits
	.p2align	6, 0x0
	.amdhsa_kernel bluestein_single_back_len294_dim1_half_op_CI_CI
		.amdhsa_group_segment_fixed_size 3528
		.amdhsa_private_segment_fixed_size 0
		.amdhsa_kernarg_size 104
		.amdhsa_user_sgpr_count 2
		.amdhsa_user_sgpr_dispatch_ptr 0
		.amdhsa_user_sgpr_queue_ptr 0
		.amdhsa_user_sgpr_kernarg_segment_ptr 1
		.amdhsa_user_sgpr_dispatch_id 0
		.amdhsa_user_sgpr_kernarg_preload_length 0
		.amdhsa_user_sgpr_kernarg_preload_offset 0
		.amdhsa_user_sgpr_private_segment_size 0
		.amdhsa_uses_dynamic_stack 0
		.amdhsa_enable_private_segment 0
		.amdhsa_system_sgpr_workgroup_id_x 1
		.amdhsa_system_sgpr_workgroup_id_y 0
		.amdhsa_system_sgpr_workgroup_id_z 0
		.amdhsa_system_sgpr_workgroup_info 0
		.amdhsa_system_vgpr_workitem_id 0
		.amdhsa_next_free_vgpr 66
		.amdhsa_next_free_sgpr 18
		.amdhsa_accum_offset 68
		.amdhsa_reserve_vcc 1
		.amdhsa_float_round_mode_32 0
		.amdhsa_float_round_mode_16_64 0
		.amdhsa_float_denorm_mode_32 3
		.amdhsa_float_denorm_mode_16_64 3
		.amdhsa_dx10_clamp 1
		.amdhsa_ieee_mode 1
		.amdhsa_fp16_overflow 0
		.amdhsa_tg_split 0
		.amdhsa_exception_fp_ieee_invalid_op 0
		.amdhsa_exception_fp_denorm_src 0
		.amdhsa_exception_fp_ieee_div_zero 0
		.amdhsa_exception_fp_ieee_overflow 0
		.amdhsa_exception_fp_ieee_underflow 0
		.amdhsa_exception_fp_ieee_inexact 0
		.amdhsa_exception_int_div_zero 0
	.end_amdhsa_kernel
	.text
.Lfunc_end0:
	.size	bluestein_single_back_len294_dim1_half_op_CI_CI, .Lfunc_end0-bluestein_single_back_len294_dim1_half_op_CI_CI
                                        ; -- End function
	.section	.AMDGPU.csdata,"",@progbits
; Kernel info:
; codeLenInByte = 13876
; NumSgprs: 24
; NumVgprs: 66
; NumAgprs: 0
; TotalNumVgprs: 66
; ScratchSize: 0
; MemoryBound: 0
; FloatMode: 240
; IeeeMode: 1
; LDSByteSize: 3528 bytes/workgroup (compile time only)
; SGPRBlocks: 2
; VGPRBlocks: 8
; NumSGPRsForWavesPerEU: 24
; NumVGPRsForWavesPerEU: 66
; AccumOffset: 68
; Occupancy: 7
; WaveLimiterHint : 1
; COMPUTE_PGM_RSRC2:SCRATCH_EN: 0
; COMPUTE_PGM_RSRC2:USER_SGPR: 2
; COMPUTE_PGM_RSRC2:TRAP_HANDLER: 0
; COMPUTE_PGM_RSRC2:TGID_X_EN: 1
; COMPUTE_PGM_RSRC2:TGID_Y_EN: 0
; COMPUTE_PGM_RSRC2:TGID_Z_EN: 0
; COMPUTE_PGM_RSRC2:TIDIG_COMP_CNT: 0
; COMPUTE_PGM_RSRC3_GFX90A:ACCUM_OFFSET: 16
; COMPUTE_PGM_RSRC3_GFX90A:TG_SPLIT: 0
	.text
	.p2alignl 6, 3212836864
	.fill 256, 4, 3212836864
	.type	__hip_cuid_a690b670c1720938,@object ; @__hip_cuid_a690b670c1720938
	.section	.bss,"aw",@nobits
	.globl	__hip_cuid_a690b670c1720938
__hip_cuid_a690b670c1720938:
	.byte	0                               ; 0x0
	.size	__hip_cuid_a690b670c1720938, 1

	.ident	"AMD clang version 19.0.0git (https://github.com/RadeonOpenCompute/llvm-project roc-6.4.0 25133 c7fe45cf4b819c5991fe208aaa96edf142730f1d)"
	.section	".note.GNU-stack","",@progbits
	.addrsig
	.addrsig_sym __hip_cuid_a690b670c1720938
	.amdgpu_metadata
---
amdhsa.kernels:
  - .agpr_count:     0
    .args:
      - .actual_access:  read_only
        .address_space:  global
        .offset:         0
        .size:           8
        .value_kind:     global_buffer
      - .actual_access:  read_only
        .address_space:  global
        .offset:         8
        .size:           8
        .value_kind:     global_buffer
      - .actual_access:  read_only
        .address_space:  global
        .offset:         16
        .size:           8
        .value_kind:     global_buffer
      - .actual_access:  read_only
        .address_space:  global
        .offset:         24
        .size:           8
        .value_kind:     global_buffer
      - .actual_access:  read_only
        .address_space:  global
        .offset:         32
        .size:           8
        .value_kind:     global_buffer
      - .offset:         40
        .size:           8
        .value_kind:     by_value
      - .address_space:  global
        .offset:         48
        .size:           8
        .value_kind:     global_buffer
      - .address_space:  global
        .offset:         56
        .size:           8
        .value_kind:     global_buffer
      - .address_space:  global
        .offset:         64
        .size:           8
        .value_kind:     global_buffer
      - .address_space:  global
        .offset:         72
        .size:           8
        .value_kind:     global_buffer
      - .offset:         80
        .size:           4
        .value_kind:     by_value
      - .address_space:  global
        .offset:         88
        .size:           8
        .value_kind:     global_buffer
      - .address_space:  global
        .offset:         96
        .size:           8
        .value_kind:     global_buffer
    .group_segment_fixed_size: 3528
    .kernarg_segment_align: 8
    .kernarg_segment_size: 104
    .language:       OpenCL C
    .language_version:
      - 2
      - 0
    .max_flat_workgroup_size: 126
    .name:           bluestein_single_back_len294_dim1_half_op_CI_CI
    .private_segment_fixed_size: 0
    .sgpr_count:     24
    .sgpr_spill_count: 0
    .symbol:         bluestein_single_back_len294_dim1_half_op_CI_CI.kd
    .uniform_work_group_size: 1
    .uses_dynamic_stack: false
    .vgpr_count:     66
    .vgpr_spill_count: 0
    .wavefront_size: 64
amdhsa.target:   amdgcn-amd-amdhsa--gfx950
amdhsa.version:
  - 1
  - 2
...

	.end_amdgpu_metadata
